;; amdgpu-corpus repo=ROCm/rccl kind=compiled arch=gfx90a opt=O3
	.text
	.amdgcn_target "amdgcn-amd-amdhsa--gfx90a"
	.amdhsa_code_object_version 6
	.p2align	2                               ; -- Begin function _ZN12_GLOBAL__N_17runRingI14__hip_fp8_e4m310FuncMinMaxIS1_E7ProtoLLLi0ELi1ELi0EEEviiP15ncclDevWorkColl
	.type	_ZN12_GLOBAL__N_17runRingI14__hip_fp8_e4m310FuncMinMaxIS1_E7ProtoLLLi0ELi1ELi0EEEviiP15ncclDevWorkColl,@function
_ZN12_GLOBAL__N_17runRingI14__hip_fp8_e4m310FuncMinMaxIS1_E7ProtoLLLi0ELi1ELi0EEEviiP15ncclDevWorkColl: ; @_ZN12_GLOBAL__N_17runRingI14__hip_fp8_e4m310FuncMinMaxIS1_E7ProtoLLLi0ELi1ELi0EEEviiP15ncclDevWorkColl
; %bb.0:
	s_waitcnt vmcnt(0) expcnt(0) lgkmcnt(0)
	s_or_saveexec_b64 s[4:5], -1
	buffer_store_dword v63, off, s[0:3], s32 offset:116 ; 4-byte Folded Spill
	s_mov_b64 exec, s[4:5]
	buffer_store_dword v40, off, s[0:3], s32 offset:112 ; 4-byte Folded Spill
	buffer_store_dword v41, off, s[0:3], s32 offset:108 ; 4-byte Folded Spill
	;; [unrolled: 1-line block ×28, first 2 shown]
	buffer_store_dword a45, off, s[0:3], s32 ; 4-byte Folded Spill
	v_writelane_b32 v63, s34, 0
	v_writelane_b32 v63, s35, 1
	;; [unrolled: 1-line block ×41, first 2 shown]
	v_mov_b32_e32 v20, v1
	v_mov_b32_e32 v44, v0
	s_trap 2
	flat_load_dword v7, v[2:3]
	flat_load_dwordx4 v[24:27], v[2:3] offset:72
	flat_load_dwordx2 v[0:1], v[2:3] offset:88
                                        ; implicit-def: $agpr6_agpr7
	s_waitcnt vmcnt(0) lgkmcnt(0)
	ds_read_b32 v5, v0
	ds_read_b64 a[4:5], v0
	v_not_b32_sdwa v6, v7 dst_sel:DWORD dst_unused:UNUSED_PAD src0_sel:BYTE_0
	v_add_u32_sdwa v4, v7, v6 dst_sel:DWORD dst_unused:UNUSED_PAD src0_sel:BYTE_1 src1_sel:DWORD
	v_ashrrev_i32_e32 v10, 31, v4
	v_mul_lo_u32 v11, v27, v4
	v_mad_u64_u32 v[8:9], s[4:5], v26, v4, 0
	v_mul_lo_u32 v4, v26, v10
	s_waitcnt lgkmcnt(1)
	v_readfirstlane_b32 s22, v5
	v_add3_u32 v4, v9, v4, v11
	v_cmp_ne_u32_sdwa s[4:5], v7, v5 src0_sel:BYTE_0 src1_sel:DWORD
                                        ; implicit-def: $vgpr10_vgpr11
	s_and_saveexec_b64 s[6:7], s[4:5]
	s_xor_b64 s[4:5], exec, s[6:7]
	s_cbranch_execz .LBB0_6
; %bb.1:
	v_cmp_ne_u32_sdwa s[6:7], v7, v5 src0_sel:BYTE_1 src1_sel:DWORD
                                        ; implicit-def: $vgpr10_vgpr11
                                        ; implicit-def: $agpr6_agpr7
	s_and_saveexec_b64 s[10:11], s[6:7]
	s_xor_b64 s[6:7], exec, s[10:11]
	s_cbranch_execz .LBB0_3
; %bb.2:
	flat_load_dwordx2 v[10:11], v[2:3] offset:96
	v_add_u32_e32 v5, v5, v6
	v_ashrrev_i32_e32 v6, 31, v5
	v_mul_lo_u32 v6, v26, v6
	v_mul_lo_u32 v7, v27, v5
	v_mad_u64_u32 v[12:13], s[10:11], v26, v5, v[24:25]
	v_add3_u32 v13, v7, v13, v6
	v_accvgpr_write_b32 a6, v12
	v_accvgpr_write_b32 a7, v13
	s_waitcnt vmcnt(0) lgkmcnt(0)
	v_lshrrev_b64 v[10:11], 17, v[10:11]
.LBB0_3:
	s_andn2_saveexec_b64 s[6:7], s[6:7]
	s_cbranch_execz .LBB0_5
; %bb.4:
	flat_load_dword v5, v[2:3] offset:100
	v_add_co_u32_e32 v6, vcc, v8, v24
	v_addc_co_u32_e32 v7, vcc, v4, v25, vcc
	v_accvgpr_write_b32 a6, v6
	v_accvgpr_write_b32 a7, v7
	v_pk_mov_b32 v[26:27], v[0:1], v[0:1] op_sel:[0,1]
	s_waitcnt vmcnt(0) lgkmcnt(0)
	v_lshrrev_b32_e32 v10, 6, v5
.LBB0_5:
	s_or_b64 exec, exec, s[6:7]
.LBB0_6:
	s_andn2_saveexec_b64 s[4:5], s[4:5]
	s_cbranch_execz .LBB0_8
; %bb.7:
	flat_load_dwordx2 v[6:7], v[2:3] offset:96
	v_pk_mov_b32 v[10:11], 0, 0
	v_accvgpr_write_b32 a6, v10
	v_accvgpr_write_b32 a7, v11
	v_pk_mov_b32 v[26:27], v[24:25], v[24:25] op_sel:[0,1]
	s_waitcnt vmcnt(0) lgkmcnt(0)
	v_lshlrev_b64 v[10:11], 4, v[6:7]
.LBB0_8:
	s_or_b64 exec, exec, s[4:5]
	s_load_dword s4, s[8:9], 0x0
	flat_load_dwordx2 v[18:19], v[2:3] offset:104
	flat_load_ushort v7, v[2:3] offset:8
	flat_load_dword v6, v[2:3] offset:4
	flat_load_dwordx4 a[8:11], v[2:3] offset:16
	v_mov_b32_e32 v3, 0
	v_and_b32_e32 v5, 63, v44
	s_waitcnt lgkmcnt(0)
	s_cmp_lt_u32 s12, s4
	s_cselect_b32 s4, 12, 18
	s_add_u32 s4, s8, s4
	s_addc_u32 s5, s9, 0
	global_load_ushort v9, v3, s[4:5]
	s_trap 2
	ds_read_b32 v2, v0
	s_mov_b32 s6, 0
	v_pk_mov_b32 v[22:23], 0, 0
	v_cmp_eq_u32_e64 s[4:5], 0, v5
	s_waitcnt lgkmcnt(0)
	v_cmp_gt_i32_e32 vcc, 0, v2
	v_readfirstlane_b32 s8, v2
	s_waitcnt vmcnt(0)
	v_lshrrev_b64 v[6:7], 31, v[6:7]
	v_and_b32_e32 v6, 3, v6
	s_cbranch_vccnz .LBB0_10
; %bb.9:
	s_trap 2
	ds_read_b64 v[12:13], v0
	v_lshlrev_b64 v[2:3], 3, v[2:3]
	v_and_b32_e32 v7, 0xffff, v6
	s_movk_i32 s6, 0xa8
	s_waitcnt lgkmcnt(0)
	v_add_co_u32_e32 v2, vcc, v12, v2
	v_addc_co_u32_e32 v3, vcc, v13, v3, vcc
	flat_load_dwordx2 v[2:3], v[2:3]
	s_waitcnt vmcnt(0) lgkmcnt(0)
	v_mad_u64_u32 v[2:3], s[6:7], v7, s6, v[2:3]
	flat_load_dwordx2 a[16:17], v[2:3] offset:504
	flat_load_dwordx2 v[34:35], v[2:3] offset:608
	v_add_co_u32_e32 v2, vcc, 0x1f8, v2
	v_addc_co_u32_e32 v3, vcc, 0, v3, vcc
	v_cndmask_b32_e64 v29, 0, v3, s[4:5]
	v_cndmask_b32_e64 v28, 0, v2, s[4:5]
	s_mov_b32 s6, 1
	s_branch .LBB0_11
.LBB0_10:
	v_pk_mov_b32 v[28:29], v[22:23], v[22:23] op_sel:[0,1]
                                        ; implicit-def: $vgpr34_vgpr35
                                        ; implicit-def: $agpr16_agpr17
.LBB0_11:
	s_trap 2
	ds_read_b32 v2, v0
	s_waitcnt lgkmcnt(0)
	v_cmp_gt_i32_e32 vcc, 0, v2
	s_cbranch_vccnz .LBB0_13
; %bb.12:
	s_trap 2
	ds_read_b64 v[12:13], v0
	v_mov_b32_e32 v3, 0
	v_lshlrev_b64 v[2:3], 3, v[2:3]
	v_and_b32_e32 v6, 0xffff, v6
	s_movk_i32 s4, 0xa8
	s_waitcnt lgkmcnt(0)
	v_add_co_u32_e32 v2, vcc, v12, v2
	v_addc_co_u32_e32 v3, vcc, v13, v3, vcc
	flat_load_dwordx2 v[2:3], v[2:3]
	v_cmp_eq_u32_e32 vcc, 0, v5
	s_waitcnt vmcnt(0) lgkmcnt(0)
	v_mad_u64_u32 v[2:3], s[4:5], v6, s4, v[2:3]
	flat_load_dwordx2 a[18:19], v[2:3]
	flat_load_dwordx2 v[16:17], v[2:3] offset:104
	v_cndmask_b32_e32 v23, 0, v3, vcc
	v_cndmask_b32_e32 v22, 0, v2, vcc
	s_branch .LBB0_14
.LBB0_13:
                                        ; implicit-def: $vgpr16_vgpr17
                                        ; implicit-def: $agpr18_agpr19
.LBB0_14:
	v_subrev_u32_e32 v2, 64, v20
	v_pk_mov_b32 v[12:13], 0, 0
	v_cmp_le_i32_e32 vcc, v2, v44
	v_cmp_gt_u32_e64 s[4:5], s6, v5
	v_accvgpr_write_b32 a21, v13
	s_and_b64 s[24:25], vcc, s[4:5]
	v_accvgpr_write_b32 a20, v12
                                        ; implicit-def: $vgpr38_vgpr39
	s_and_saveexec_b64 s[4:5], s[24:25]
	s_cbranch_execz .LBB0_16
; %bb.15:
	flat_load_dwordx2 a[20:21], v[28:29] offset:56
	flat_load_dwordx2 v[38:39], v[28:29] offset:104
.LBB0_16:
	s_or_b64 exec, exec, s[4:5]
	v_cmp_gt_i32_e64 s[4:5], s6, v44
	v_pk_mov_b32 v[50:51], v[12:13], v[12:13] op_sel:[0,1]
                                        ; implicit-def: $vgpr52_vgpr53
	s_and_saveexec_b64 s[6:7], s[4:5]
	s_cbranch_execz .LBB0_18
; %bb.17:
	flat_load_dwordx2 v[50:51], v[22:23] offset:56
	s_waitcnt vmcnt(0) lgkmcnt(0)
	flat_load_dwordx2 v[52:53], v[50:51] glc
	s_waitcnt vmcnt(0)
	flat_load_dwordx4 v[12:15], v[22:23] offset:96
.LBB0_18:
	s_or_b64 exec, exec, s[6:7]
	v_cmp_ne_u64_e32 vcc, 0, v[26:27]
	v_pk_mov_b32 v[42:43], 0, 0
	s_and_saveexec_b64 s[26:27], vcc
	s_cbranch_execz .LBB0_852
; %bb.19:
	v_add_co_u32_e32 v0, vcc, v0, v24
	s_ashr_i32 s6, s8, 31
	v_addc_co_u32_e32 v1, vcc, v1, v25, vcc
	s_lshr_b32 s6, s6, 29
	v_add_co_u32_e32 v0, vcc, v0, v8
	s_ashr_i32 s23, s22, 31
	s_add_i32 s8, s8, s6
	v_accvgpr_write_b32 a22, v0
	v_addc_co_u32_e32 v0, vcc, v1, v4, vcc
	s_lshl_b64 s[6:7], s[22:23], 2
	v_accvgpr_read_b32 v2, a4
	v_accvgpr_write_b32 a23, v0
	v_mov_b32_e32 v0, s7
	v_accvgpr_read_b32 v3, a5
	v_add_co_u32_e32 v1, vcc, s6, v2
	v_addc_co_u32_e32 v0, vcc, v3, v0, vcc
	v_add_co_u32_e32 v2, vcc, -4, v1
	v_addc_co_u32_e32 v3, vcc, -1, v0, vcc
	v_and_b32_e32 v0, 63, v31
	v_ashrrev_i32_e32 v21, 31, v20
	v_cmp_eq_u32_e64 s[12:13], 0, v0
	v_lshrrev_b32_e32 v0, 26, v21
	v_accvgpr_write_b32 a25, v3
	v_add_u32_e32 v0, v20, v0
	v_accvgpr_write_b32 a24, v2
	v_ashrrev_i32_e32 v0, 6, v0
	v_accvgpr_read_b32 v2, a8
	v_accvgpr_write_b32 a26, v0
	v_ashrrev_i32_e32 v1, 31, v0
	v_lshlrev_b32_e32 v6, 3, v44
	v_accvgpr_read_b32 v4, a10
	v_and_b32_e32 v0, 1, v18
	v_accvgpr_write_b32 a27, v1
	v_ashrrev_i32_e32 v7, 31, v6
	v_accvgpr_read_b32 v5, a11
	v_add_co_u32_e32 v4, vcc, v4, v6
	v_cmp_eq_u32_e64 s[14:15], 1, v0
	s_waitcnt vmcnt(0) lgkmcnt(0)
	v_accvgpr_read_b32 v0, a20
	v_addc_co_u32_e32 v5, vcc, v5, v7, vcc
	v_accvgpr_read_b32 v1, a21
	v_accvgpr_read_b32 v3, a9
	v_cmp_ne_u64_e64 s[16:17], 0, v[0:1]
	v_add_co_u32_e32 v0, vcc, v2, v6
	v_accvgpr_write_b32 a32, v0
	v_addc_co_u32_e32 v0, vcc, v3, v7, vcc
	v_accvgpr_write_b32 a33, v0
	v_accvgpr_read_b32 v0, a6
	v_accvgpr_read_b32 v1, a7
	v_add_co_u32_e32 v0, vcc, v4, v0
	v_addc_co_u32_e32 v1, vcc, v5, v1, vcc
	v_accvgpr_write_b32 a35, v1
	v_ashrrev_i32_e32 v45, 31, v44
	v_accvgpr_write_b32 a12, v22
	s_ashr_i32 s10, s8, 3
	v_accvgpr_write_b32 a34, v0
	v_lshlrev_b64 v[0:1], 4, v[44:45]
	v_accvgpr_read_b32 v2, a18
	v_accvgpr_write_b32 a13, v23
	v_and_b32_e32 v54, 0x1fffff0, v10
	v_mov_b32_e32 v23, 0
	s_ashr_i32 s60, s8, 7
	s_and_b32 s23, s10, -16
	v_accvgpr_read_b32 v3, a19
	v_add_co_u32_e32 v0, vcc, v2, v0
	v_accvgpr_write_b32 a14, v28
	v_mov_b32_e32 v55, v23
	v_accvgpr_write_b32 a1, v9
	v_cmp_ne_u32_sdwa s[30:31], v9, v20 src0_sel:WORD_0 src1_sel:DWORD
	v_lshlrev_b32_e32 v56, 3, v20
	s_cmp_gt_i32 s22, 2
	v_accvgpr_write_b32 a37, v0
	v_addc_co_u32_e32 v0, vcc, v3, v1, vcc
	v_pk_mov_b32 v[8:9], 0, 0
	v_accvgpr_write_b32 a2, v26
	v_accvgpr_write_b32 a8, v54
	;; [unrolled: 1-line block ×3, first 2 shown]
	s_mov_b64 s[28:29], 0
	v_cmp_ne_u64_e64 s[6:7], 0, v[50:51]
	v_cmp_ne_u64_e64 s[8:9], 0, v[12:13]
	v_cmp_ne_u32_e64 s[10:11], 64, v20
	v_accvgpr_write_b32 a0, v31
	s_cselect_b64 s[34:35], -1, 0
	v_accvgpr_write_b32 a28, v6
	v_accvgpr_write_b32 a29, v7
	v_accvgpr_write_b32 a30, v4
	v_accvgpr_write_b32 a31, v5
	v_lshlrev_b32_e32 v29, 6, v20
	v_accvgpr_write_b32 a38, v0
	s_movk_i32 s61, 0x2710
	s_mov_b64 s[36:37], 0x7ffffff8
	s_movk_i32 s62, 0xff
	s_movk_i32 s63, 0x80
	;; [unrolled: 1-line block ×3, first 2 shown]
	s_mov_b64 s[38:39], 0x7f800000
	s_mov_b64 s[40:41], 0x43e00001
	s_movk_i32 s65, 0x7a
	s_mov_b64 s[42:43], 0xffffff
	s_mov_b32 s66, 0xffffff
	s_mov_b32 s67, 0xc0c0500
	;; [unrolled: 1-line block ×5, first 2 shown]
	v_bfrev_b32_e32 v46, 60
	v_mov_b32_e32 v47, 0xffffff82
	v_mov_b32_e32 v30, 0x78
	;; [unrolled: 1-line block ×4, first 2 shown]
	v_ashrrev_i32_e32 v45, 31, v56
	v_lshlrev_b64 v[58:59], 4, v[20:21]
	v_pk_mov_b32 v[42:43], v[8:9], v[8:9] op_sel:[0,1]
	v_accvgpr_write_b32 a3, v27
	v_accvgpr_write_b32 a9, v55
	s_branch .LBB0_21
.LBB0_20:                               ;   in Loop: Header=BB0_21 Depth=1
	s_or_b64 exec, exec, s[18:19]
	v_add_co_u32_e32 v34, vcc, 1, v34
	v_addc_co_u32_e32 v35, vcc, 0, v35, vcc
	v_add_co_u32_e32 v8, vcc, v8, v54
	v_addc_co_u32_e32 v9, vcc, 0, v9, vcc
	v_cmp_ge_u64_e32 vcc, v[8:9], v[26:27]
	v_accvgpr_read_b32 v0, a34
	s_or_b64 s[28:29], vcc, s[28:29]
	v_accvgpr_read_b32 v1, a35
	v_add_co_u32_e32 v0, vcc, v0, v54
	v_addc_co_u32_e32 v1, vcc, 0, v1, vcc
	v_accvgpr_write_b32 a35, v1
	v_accvgpr_write_b32 a34, v0
	s_andn2_b64 exec, exec, s[28:29]
	s_cbranch_execz .LBB0_851
.LBB0_21:                               ; =>This Loop Header: Depth=1
                                        ;     Child Loop BB0_28 Depth 2
                                        ;     Child Loop BB0_45 Depth 2
	;; [unrolled: 1-line block ×5, first 2 shown]
                                        ;       Child Loop BB0_85 Depth 3
                                        ;       Child Loop BB0_101 Depth 3
	;; [unrolled: 1-line block ×3, first 2 shown]
                                        ;         Child Loop BB0_122 Depth 4
                                        ;       Child Loop BB0_458 Depth 3
                                        ;       Child Loop BB0_78 Depth 3
                                        ;     Child Loop BB0_475 Depth 2
                                        ;       Child Loop BB0_483 Depth 3
                                        ;     Child Loop BB0_838 Depth 2
	v_accvgpr_read_b32 v0, a24
	v_accvgpr_read_b32 v1, a25
	s_waitcnt vmcnt(0) lgkmcnt(0)
	flat_load_dword v2, v[0:1]
	v_sub_co_u32_e32 v0, vcc, v26, v8
	v_subb_co_u32_e32 v1, vcc, v27, v9, vcc
	v_cmp_lt_u64_e32 vcc, v[54:55], v[0:1]
	v_cndmask_b32_e32 v3, v0, v54, vcc
	v_lshl_add_u32 v0, v3, 1, 14
	v_and_b32_e32 v0, 0x7fffff0, v0
	v_accvgpr_write_b32 a39, v0
	s_mov_b64 s[18:19], exec
	v_accvgpr_write_b32 a41, v9
	s_and_b64 s[20:21], s[18:19], s[6:7]
	v_accvgpr_write_b32 a40, v8
	s_mov_b64 exec, s[20:21]
	s_cbranch_execz .LBB0_37
; %bb.22:                               ;   in Loop: Header=BB0_21 Depth=1
	v_add_co_u32_e32 v0, vcc, 1, v14
	v_addc_co_u32_e32 v1, vcc, 0, v15, vcc
	v_add_co_u32_e32 v4, vcc, 8, v52
	v_addc_co_u32_e32 v5, vcc, 0, v53, vcc
	v_cmp_lt_u64_e32 vcc, v[4:5], v[0:1]
	s_and_saveexec_b64 s[20:21], vcc
	s_cbranch_execz .LBB0_34
; %bb.23:                               ;   in Loop: Header=BB0_21 Depth=1
	s_sleep 1
	flat_load_dwordx2 v[52:53], v[50:51] glc
	v_cmp_eq_u32_e32 vcc, 0, v7
	s_and_saveexec_b64 s[44:45], vcc
	s_cbranch_execz .LBB0_33
; %bb.24:                               ;   in Loop: Header=BB0_21 Depth=1
	v_cndmask_b32_e64 v4, 0, 1, vcc
	s_mov_b64 s[46:47], 0
                                        ; implicit-def: $sgpr48_sgpr49
	s_branch .LBB0_28
.LBB0_25:                               ;   in Loop: Header=BB0_28 Depth=2
	s_or_b64 exec, exec, s[56:57]
	s_orn2_b64 s[54:55], s[54:55], exec
.LBB0_26:                               ;   in Loop: Header=BB0_28 Depth=2
	s_or_b64 exec, exec, s[52:53]
	s_xor_b64 vcc, s[54:55], -1
	s_andn2_b64 s[48:49], s[48:49], exec
	s_and_b64 vcc, vcc, exec
	s_or_b64 s[48:49], s[48:49], vcc
.LBB0_27:                               ;   in Loop: Header=BB0_28 Depth=2
	s_or_b64 exec, exec, s[50:51]
	s_and_b64 vcc, exec, s[48:49]
	s_or_b64 s[46:47], vcc, s[46:47]
	s_andn2_b64 exec, exec, s[46:47]
	s_cbranch_execz .LBB0_32
.LBB0_28:                               ;   Parent Loop BB0_21 Depth=1
                                        ; =>  This Inner Loop Header: Depth=2
	s_waitcnt vmcnt(0) lgkmcnt(0)
	v_add_co_u32_e32 v8, vcc, 8, v52
	v_addc_co_u32_e32 v9, vcc, 0, v53, vcc
	v_cmp_lt_u64_e32 vcc, v[8:9], v[0:1]
	v_mov_b32_e32 v7, 0
	s_or_b64 s[48:49], s[48:49], exec
	s_and_saveexec_b64 s[50:51], vcc
	s_cbranch_execz .LBB0_27
; %bb.29:                               ;   in Loop: Header=BB0_28 Depth=2
	s_sleep 1
	flat_load_dwordx2 v[52:53], v[50:51] glc
	v_add_u32_e32 v4, 1, v4
	v_cmp_eq_u32_e32 vcc, s61, v4
	s_mov_b64 s[54:55], -1
	v_mov_b32_e32 v7, 0
	s_and_saveexec_b64 s[52:53], vcc
	s_cbranch_execz .LBB0_26
; %bb.30:                               ;   in Loop: Header=BB0_28 Depth=2
	s_trap 2
	ds_read_b64 v[4:5], v0
	v_mov_b32_e32 v7, 0
	s_waitcnt vmcnt(0) lgkmcnt(0)
	flat_load_dword v5, v[4:5] glc
	s_waitcnt vmcnt(0) lgkmcnt(0)
	buffer_invl2
	buffer_wbinvl1_vol
	v_mov_b32_e32 v4, 0
	v_cmp_ne_u32_e32 vcc, 0, v5
	s_and_saveexec_b64 s[56:57], vcc
	s_cbranch_execz .LBB0_25
; %bb.31:                               ;   in Loop: Header=BB0_28 Depth=2
	v_mov_b32_e32 v7, 1
	s_xor_b64 s[54:55], exec, -1
	ds_write_b32 v0, v5
	s_trap 2
	s_branch .LBB0_25
.LBB0_32:                               ;   in Loop: Header=BB0_21 Depth=1
	s_or_b64 exec, exec, s[46:47]
	v_accvgpr_read_b32 v8, a40
	v_accvgpr_read_b32 v9, a41
.LBB0_33:                               ;   in Loop: Header=BB0_21 Depth=1
	s_or_b64 exec, exec, s[44:45]
.LBB0_34:                               ;   in Loop: Header=BB0_21 Depth=1
	s_or_b64 exec, exec, s[20:21]
	s_and_saveexec_b64 s[20:21], s[8:9]
	s_cbranch_execz .LBB0_36
; %bb.35:                               ;   in Loop: Header=BB0_21 Depth=1
	v_and_b32_e32 v22, 0x7ffffff8, v14
	v_mov_b32_e32 v4, s23
	v_cmp_eq_u64_e32 vcc, s[36:37], v[22:23]
	v_accvgpr_read_b32 v5, a39
	v_cndmask_b32_e32 v4, v5, v4, vcc
	v_and_b32_e32 v8, 7, v14
	v_ashrrev_i32_e32 v5, 31, v4
	v_mad_u64_u32 v[8:9], vcc, v8, 24, v[12:13]
	flat_store_dwordx2 v[8:9], v[4:5] offset:8
	s_waitcnt vmcnt(0)
	v_accvgpr_read_b32 v8, a40
	v_accvgpr_read_b32 v9, a41
.LBB0_36:                               ;   in Loop: Header=BB0_21 Depth=1
	s_or_b64 exec, exec, s[20:21]
	v_pk_mov_b32 v[14:15], v[0:1], v[0:1] op_sel:[0,1]
.LBB0_37:                               ;   in Loop: Header=BB0_21 Depth=1
	s_or_b64 exec, exec, s[18:19]
	s_and_saveexec_b64 s[18:19], s[10:11]
	s_cbranch_execz .LBB0_56
; %bb.38:                               ;   in Loop: Header=BB0_21 Depth=1
	s_and_saveexec_b64 s[20:21], s[30:31]
	s_xor_b64 s[20:21], exec, s[20:21]
	s_cbranch_execz .LBB0_53
; %bb.39:                               ;   in Loop: Header=BB0_21 Depth=1
	s_and_saveexec_b64 s[44:45], s[12:13]
	s_cbranch_execz .LBB0_52
; %bb.40:                               ;   in Loop: Header=BB0_21 Depth=1
	s_mov_b64 s[48:49], exec
	v_mbcnt_lo_u32_b32 v0, s48, 0
	v_mbcnt_hi_u32_b32 v0, s49, v0
	v_cmp_eq_u32_e32 vcc, 0, v0
	s_waitcnt vmcnt(0) lgkmcnt(0)
	buffer_wbinvl1_vol
	s_and_saveexec_b64 s[46:47], vcc
	s_cbranch_execz .LBB0_42
; %bb.41:                               ;   in Loop: Header=BB0_21 Depth=1
	s_bcnt1_i32_b64 vcc_lo, s[48:49]
	v_mov_b32_e32 v22, vcc_lo
	ds_add_u64 v0, v[22:23]
	s_trap 2
.LBB0_42:                               ;   in Loop: Header=BB0_21 Depth=1
	s_or_b64 exec, exec, s[46:47]
	s_trap 2
	ds_read_b64 v[0:1], v0
	v_accvgpr_read_b32 v4, a26
	v_add_co_u32_e32 v42, vcc, v42, v4
	v_accvgpr_read_b32 v5, a27
	v_addc_co_u32_e32 v43, vcc, v43, v5, vcc
	s_waitcnt lgkmcnt(0)
	v_cmp_lt_u64_e32 vcc, v[0:1], v[42:43]
	s_and_saveexec_b64 s[46:47], vcc
	s_cbranch_execz .LBB0_51
; %bb.43:                               ;   in Loop: Header=BB0_21 Depth=1
	s_mov_b32 s58, 0
	s_mov_b64 s[48:49], 0
                                        ; implicit-def: $sgpr50_sgpr51
                                        ; implicit-def: $sgpr52_sgpr53
	s_branch .LBB0_45
.LBB0_44:                               ;   in Loop: Header=BB0_45 Depth=2
	s_or_b64 exec, exec, s[56:57]
	s_and_b64 vcc, exec, vcc
	s_or_b64 s[48:49], vcc, s[48:49]
	s_andn2_b64 vcc, s[50:51], exec
	s_and_b64 s[50:51], s[52:53], exec
	s_or_b64 s[50:51], vcc, s[50:51]
	s_andn2_b64 exec, exec, s[48:49]
	s_cbranch_execz .LBB0_49
.LBB0_45:                               ;   Parent Loop BB0_21 Depth=1
                                        ; =>  This Inner Loop Header: Depth=2
	s_add_i32 s58, s58, 1
	s_cmpk_lg_i32 s58, 0x2710
	s_cselect_b64 s[54:55], -1, 0
	s_and_b64 vcc, exec, s[54:55]
                                        ; implicit-def: $sgpr56_sgpr57
	s_cbranch_vccnz .LBB0_47
; %bb.46:                               ;   in Loop: Header=BB0_45 Depth=2
	s_trap 2
	ds_read_b64 v[0:1], v0
	s_andn2_b64 s[54:55], s[54:55], exec
	s_mov_b32 s58, 0
	s_mov_b64 s[56:57], -1
	s_waitcnt lgkmcnt(0)
	flat_load_dword v0, v[0:1] glc
	s_waitcnt vmcnt(0) lgkmcnt(0)
	buffer_invl2
	buffer_wbinvl1_vol
	v_cmp_eq_u32_e32 vcc, 0, v0
	s_and_b64 vcc, vcc, exec
	s_or_b64 s[54:55], s[54:55], vcc
.LBB0_47:                               ;   in Loop: Header=BB0_45 Depth=2
	s_andn2_b64 s[52:53], s[52:53], exec
	s_and_b64 s[56:57], s[56:57], exec
	s_mov_b64 vcc, -1
	s_or_b64 s[52:53], s[52:53], s[56:57]
	s_and_saveexec_b64 s[56:57], s[54:55]
	s_cbranch_execz .LBB0_44
; %bb.48:                               ;   in Loop: Header=BB0_45 Depth=2
	s_sleep 1
	s_trap 2
	ds_read_b64 v[0:1], v0
	s_andn2_b64 s[52:53], s[52:53], exec
	s_waitcnt lgkmcnt(0)
	v_cmp_ge_u64_e32 vcc, v[0:1], v[42:43]
	s_orn2_b64 vcc, vcc, exec
	s_branch .LBB0_44
.LBB0_49:                               ;   in Loop: Header=BB0_21 Depth=1
	s_or_b64 exec, exec, s[48:49]
	s_and_saveexec_b64 vcc, s[50:51]
	s_xor_b64 vcc, exec, vcc
	s_cbranch_execz .LBB0_51
; %bb.50:                               ;   in Loop: Header=BB0_21 Depth=1
	v_mov_b32_e32 v0, 1
	ds_write_b32 v0, v0
	s_trap 2
.LBB0_51:                               ;   in Loop: Header=BB0_21 Depth=1
	s_or_b64 exec, exec, s[46:47]
	;;#ASMSTART
	s_wakeup
	;;#ASMEND
.LBB0_52:                               ;   in Loop: Header=BB0_21 Depth=1
	s_or_b64 exec, exec, s[44:45]
.LBB0_53:                               ;   in Loop: Header=BB0_21 Depth=1
	s_andn2_saveexec_b64 s[20:21], s[20:21]
	s_cbranch_execz .LBB0_55
; %bb.54:                               ;   in Loop: Header=BB0_21 Depth=1
	s_waitcnt vmcnt(0) lgkmcnt(0)
	buffer_wbinvl1_vol
	s_barrier
.LBB0_55:                               ;   in Loop: Header=BB0_21 Depth=1
	s_or_b64 exec, exec, s[20:21]
.LBB0_56:                               ;   in Loop: Header=BB0_21 Depth=1
	s_or_b64 exec, exec, s[18:19]
	v_accvgpr_read_b32 v0, a28
	v_sub_u32_e32 v21, v3, v0
	v_cmp_lt_i32_e64 s[18:19], 0, v21
	v_and_b32_e32 v1, 7, v16
	v_mov_b32_e32 v0, v44
	s_and_saveexec_b64 s[20:21], s[18:19]
	s_cbranch_execz .LBB0_64
; %bb.57:                               ;   in Loop: Header=BB0_21 Depth=1
	v_accvgpr_read_b32 v24, a34
	s_waitcnt vmcnt(0) lgkmcnt(0)
	v_ashrrev_i32_e32 v0, 31, v2
	v_mov_b32_e32 v3, v16
	v_add_co_u32_e64 v8, vcc, 0, 0
	v_accvgpr_read_b32 v18, a22
	v_accvgpr_read_b32 v25, a35
	;; [unrolled: 1-line block ×3, first 2 shown]
	v_mul_lo_u32 v4, v1, s60
	v_addc_co_u32_e32 v3, vcc, 1, v3, vcc
	v_mad_u64_u32 v[10:11], vcc, v18, v2, v[24:25]
	v_mul_lo_u32 v9, v9, v2
	v_mul_lo_u32 v0, v18, v0
	v_ashrrev_i32_e32 v5, 31, v4
	v_add3_u32 v11, v9, v11, v0
	v_mul_lo_u32 v0, v18, v2
	v_add_lshl_u32 v9, v24, v0, 3
	v_lshlrev_b64 v[4:5], 4, v[4:5]
	v_accvgpr_read_b32 v0, a37
	v_add_co_u32_e32 v18, vcc, v0, v4
	v_accvgpr_read_b32 v0, a38
	v_addc_co_u32_e32 v19, vcc, v0, v5, vcc
	s_mov_b64 s[44:45], 0
	v_mov_b32_e32 v26, v21
	v_mov_b32_e32 v0, v44
	s_branch .LBB0_59
.LBB0_58:                               ;   in Loop: Header=BB0_59 Depth=2
	s_or_b64 exec, exec, s[46:47]
	v_add_co_u32_e32 v10, vcc, v10, v56
	s_waitcnt vmcnt(0)
	v_alignbit_b32 v2, v28, v2, v9
	v_alignbit_b32 v4, v27, v28, v9
	v_sub_u32_e32 v26, v26, v56
	v_addc_co_u32_e32 v11, vcc, v11, v45, vcc
	v_or_b32_e32 v2, v8, v2
	v_or_b32_e32 v4, v8, v4
	v_mov_b32_e32 v5, v3
	v_cmp_gt_i32_e32 vcc, 1, v26
	global_store_dwordx4 v[18:19], v[2:5], off
	s_or_b64 s[44:45], vcc, s[44:45]
	v_add_co_u32_e32 v18, vcc, v18, v58
	v_add_u32_e32 v0, v0, v20
	v_add_u32_e32 v9, v9, v29
	v_addc_co_u32_e32 v19, vcc, v19, v59, vcc
	s_andn2_b64 exec, exec, s[44:45]
	s_cbranch_execz .LBB0_63
.LBB0_59:                               ;   Parent Loop BB0_21 Depth=1
                                        ; =>  This Inner Loop Header: Depth=2
	v_and_b32_e32 v4, -4, v10
	v_mov_b32_e32 v5, v11
	global_load_dword v2, v[4:5], off glc slc
	v_min_u32_e32 v22, 8, v26
	v_and_b32_e32 v24, 3, v10
	v_add_co_u32_e32 v24, vcc, v24, v22
	v_addc_co_u32_e64 v25, vcc, 0, 0, vcc
	v_mov_b32_e32 v27, 0
	v_cmp_lt_u64_e32 vcc, 4, v[24:25]
	v_mov_b32_e32 v28, 0
	s_and_saveexec_b64 s[46:47], vcc
	s_cbranch_execz .LBB0_61
; %bb.60:                               ;   in Loop: Header=BB0_59 Depth=2
	global_load_dword v28, v[4:5], off offset:4 glc slc
.LBB0_61:                               ;   in Loop: Header=BB0_59 Depth=2
	s_or_b64 exec, exec, s[46:47]
	v_cmp_lt_u64_e32 vcc, 8, v[24:25]
	s_and_saveexec_b64 s[46:47], vcc
	s_cbranch_execz .LBB0_58
; %bb.62:                               ;   in Loop: Header=BB0_59 Depth=2
	global_load_dword v27, v[4:5], off offset:8 glc slc
	s_branch .LBB0_58
.LBB0_63:                               ;   in Loop: Header=BB0_21 Depth=1
	s_or_b64 exec, exec, s[44:45]
	v_accvgpr_read_b32 v8, a40
	v_accvgpr_read_b32 v9, a41
.LBB0_64:                               ;   in Loop: Header=BB0_21 Depth=1
	s_or_b64 exec, exec, s[20:21]
	v_and_b32_e32 v22, 0x7ffffff8, v16
	v_cmp_eq_u64_e32 vcc, s[36:37], v[22:23]
	v_cmp_gt_i32_e64 s[20:21], s60, v0
	s_and_b64 s[20:21], vcc, s[20:21]
	s_and_saveexec_b64 s[44:45], s[20:21]
	s_cbranch_execz .LBB0_67
; %bb.65:                               ;   in Loop: Header=BB0_21 Depth=1
	v_mul_lo_u32 v4, v1, s60
	v_mov_b32_e32 v1, v16
	s_waitcnt vmcnt(0) lgkmcnt(0)
	v_add_co_u32_e64 v2, vcc, 0, 0
	v_ashrrev_i32_e32 v5, 31, v4
	v_addc_co_u32_e32 v3, vcc, 1, v1, vcc
	v_ashrrev_i32_e32 v1, 31, v0
	v_lshlrev_b64 v[8:9], 4, v[0:1]
	v_lshlrev_b64 v[4:5], 4, v[4:5]
	v_add_co_u32_e32 v1, vcc, v8, v4
	v_addc_co_u32_e32 v4, vcc, v9, v5, vcc
	v_accvgpr_read_b32 v8, a18
	v_accvgpr_read_b32 v9, a19
	v_add_co_u32_e32 v10, vcc, v8, v1
	v_addc_co_u32_e32 v11, vcc, v9, v4, vcc
	v_accvgpr_read_b32 v8, a40
	v_accvgpr_read_b32 v9, a41
	s_mov_b64 s[46:47], 0
.LBB0_66:                               ;   Parent Loop BB0_21 Depth=1
                                        ; =>  This Inner Loop Header: Depth=2
	v_mov_b32_e32 v4, v2
	v_mov_b32_e32 v5, v3
	v_add_u32_e32 v0, v0, v20
	global_store_dwordx4 v[10:11], v[2:5], off
	v_cmp_le_i32_e32 vcc, s60, v0
	v_add_co_u32_e64 v10, s[20:21], v10, v58
	s_or_b64 s[46:47], vcc, s[46:47]
	v_addc_co_u32_e64 v11, vcc, v11, v59, s[20:21]
	s_andn2_b64 exec, exec, s[46:47]
	s_cbranch_execnz .LBB0_66
.LBB0_67:                               ;   in Loop: Header=BB0_21 Depth=1
	s_or_b64 exec, exec, s[44:45]
	v_accvgpr_read_b32 v0, a6
	v_accvgpr_read_b32 v1, a7
	s_waitcnt vmcnt(0) lgkmcnt(0)
	v_add_co_u32_e32 v2, vcc, v8, v0
	v_addc_co_u32_e32 v1, vcc, v9, v1, vcc
	v_add_co_u32_e64 v28, s[20:21], 1, v16
	v_accvgpr_write_b32 a36, v29
	s_andn2_b64 vcc, exec, s[34:35]
	v_addc_co_u32_e64 v29, s[20:21], 0, v17, s[20:21]
	s_cbranch_vccnz .LBB0_469
; %bb.68:                               ;   in Loop: Header=BB0_21 Depth=1
	v_accvgpr_read_b32 v0, a30
	v_accvgpr_write_b32 a42, v2
	v_add_co_u32_e32 v2, vcc, v0, v2
	v_accvgpr_read_b32 v0, a31
	v_addc_co_u32_e32 v3, vcc, v0, v1, vcc
	v_accvgpr_write_b32 a45, v3
	v_accvgpr_write_b32 a43, v1
	v_accvgpr_write_b32 a44, v2
	v_add_u16_e32 v54, 1, v16
	s_mov_b32 s71, 2
	s_branch .LBB0_70
.LBB0_69:                               ;   in Loop: Header=BB0_70 Depth=2
	s_or_b64 exec, exec, s[44:45]
	v_add_co_u32_e32 v34, vcc, 1, v34
	v_addc_co_u32_e32 v35, vcc, 0, v35, vcc
	s_add_i32 s71, s71, 1
	v_add_co_u32_e32 v28, vcc, 1, v28
	v_addc_co_u32_e32 v29, vcc, 0, v29, vcc
	s_cmp_eq_u32 s71, s22
	v_add_u16_e32 v54, 1, v54
	s_cbranch_scc1 .LBB0_470
.LBB0_70:                               ;   Parent Loop BB0_21 Depth=1
                                        ; =>  This Loop Header: Depth=2
                                        ;       Child Loop BB0_85 Depth 3
                                        ;       Child Loop BB0_101 Depth 3
	;; [unrolled: 1-line block ×3, first 2 shown]
                                        ;         Child Loop BB0_122 Depth 4
                                        ;       Child Loop BB0_458 Depth 3
                                        ;       Child Loop BB0_78 Depth 3
	s_sub_i32 s20, s22, s71
	s_ashr_i32 s21, s20, 31
	s_lshl_b64 s[20:21], s[20:21], 2
	s_waitcnt vmcnt(0) lgkmcnt(0)
	v_accvgpr_read_b32 v2, a4
	v_mov_b32_e32 v1, s21
	v_accvgpr_read_b32 v3, a5
	v_add_co_u32_e32 v0, vcc, s20, v2
	v_addc_co_u32_e32 v1, vcc, v3, v1, vcc
	flat_load_dword v2, v[0:1]
	s_and_saveexec_b64 s[20:21], s[6:7]
	s_cbranch_execnz .LBB0_79
; %bb.71:                               ;   in Loop: Header=BB0_70 Depth=2
	s_or_b64 exec, exec, s[20:21]
	s_and_saveexec_b64 s[20:21], s[10:11]
	s_cbranch_execnz .LBB0_94
.LBB0_72:                               ;   in Loop: Header=BB0_70 Depth=2
	s_or_b64 exec, exec, s[20:21]
	v_mov_b32_e32 v0, v44
	s_and_saveexec_b64 s[44:45], s[18:19]
	s_cbranch_execnz .LBB0_112
.LBB0_73:                               ;   in Loop: Header=BB0_70 Depth=2
	s_or_b64 exec, exec, s[44:45]
	s_and_saveexec_b64 s[20:21], s[10:11]
	s_cbranch_execnz .LBB0_451
.LBB0_74:                               ;   in Loop: Header=BB0_70 Depth=2
	s_or_b64 exec, exec, s[20:21]
	s_and_saveexec_b64 s[20:21], s[16:17]
	s_cbranch_execz .LBB0_76
.LBB0_75:                               ;   in Loop: Header=BB0_70 Depth=2
	v_add_co_u32_e32 v38, vcc, 1, v38
	s_waitcnt vmcnt(0) lgkmcnt(0)
	v_accvgpr_read_b32 v2, a20
	v_addc_co_u32_e32 v39, vcc, 0, v39, vcc
	v_accvgpr_read_b32 v3, a21
	flat_store_dwordx2 v[2:3], v[38:39]
.LBB0_76:                               ;   in Loop: Header=BB0_70 Depth=2
	s_or_b64 exec, exec, s[20:21]
	v_and_b32_e32 v22, 0x7ffffff8, v28
	v_cmp_eq_u64_e32 vcc, s[36:37], v[22:23]
	v_cmp_gt_i32_e64 s[20:21], s60, v0
	s_and_b64 s[20:21], vcc, s[20:21]
	s_and_saveexec_b64 s[44:45], s[20:21]
	s_cbranch_execz .LBB0_69
; %bb.77:                               ;   in Loop: Header=BB0_70 Depth=2
	v_and_b32_e32 v1, 7, v54
	s_waitcnt vmcnt(0) lgkmcnt(0)
	v_mul_lo_u32 v2, s60, v1
	v_ashrrev_i32_e32 v3, 31, v2
	v_lshlrev_b64 v[4:5], 4, v[2:3]
	v_mov_b32_e32 v1, v28
	v_add_co_u32_e64 v2, vcc, 0, 0
	v_addc_co_u32_e32 v3, vcc, 1, v1, vcc
	v_ashrrev_i32_e32 v1, 31, v0
	v_lshlrev_b64 v[8:9], 4, v[0:1]
	v_add_co_u32_e32 v1, vcc, v8, v4
	v_addc_co_u32_e32 v4, vcc, v9, v5, vcc
	v_accvgpr_read_b32 v8, a18
	v_accvgpr_read_b32 v9, a19
	v_add_co_u32_e32 v10, vcc, v8, v1
	v_addc_co_u32_e32 v11, vcc, v9, v4, vcc
	v_accvgpr_read_b32 v8, a40
	v_accvgpr_read_b32 v9, a41
	s_mov_b64 s[46:47], 0
.LBB0_78:                               ;   Parent Loop BB0_21 Depth=1
                                        ;     Parent Loop BB0_70 Depth=2
                                        ; =>    This Inner Loop Header: Depth=3
	v_mov_b32_e32 v4, v2
	v_mov_b32_e32 v5, v3
	v_add_u32_e32 v0, v0, v20
	global_store_dwordx4 v[10:11], v[2:5], off
	v_cmp_le_i32_e32 vcc, s60, v0
	v_add_co_u32_e64 v10, s[20:21], v10, v58
	s_or_b64 s[46:47], vcc, s[46:47]
	v_addc_co_u32_e64 v11, vcc, v11, v59, s[20:21]
	s_andn2_b64 exec, exec, s[46:47]
	s_cbranch_execnz .LBB0_78
	s_branch .LBB0_69
.LBB0_79:                               ;   in Loop: Header=BB0_70 Depth=2
	v_add_co_u32_e32 v0, vcc, 1, v14
	v_addc_co_u32_e32 v1, vcc, 0, v15, vcc
	v_add_co_u32_e32 v4, vcc, 8, v52
	v_addc_co_u32_e32 v5, vcc, 0, v53, vcc
	v_cmp_lt_u64_e32 vcc, v[4:5], v[0:1]
	s_and_saveexec_b64 s[44:45], vcc
	s_cbranch_execz .LBB0_91
; %bb.80:                               ;   in Loop: Header=BB0_70 Depth=2
	s_sleep 1
	flat_load_dwordx2 v[52:53], v[50:51] glc
	v_cmp_eq_u32_e32 vcc, 0, v7
	s_and_saveexec_b64 s[46:47], vcc
	s_cbranch_execz .LBB0_90
; %bb.81:                               ;   in Loop: Header=BB0_70 Depth=2
	v_cndmask_b32_e64 v3, 0, 1, vcc
	s_mov_b64 s[48:49], 0
                                        ; implicit-def: $sgpr50_sgpr51
	s_branch .LBB0_85
.LBB0_82:                               ;   in Loop: Header=BB0_85 Depth=3
	s_or_b64 exec, exec, s[58:59]
	s_orn2_b64 s[56:57], s[56:57], exec
.LBB0_83:                               ;   in Loop: Header=BB0_85 Depth=3
	s_or_b64 exec, exec, s[54:55]
	s_xor_b64 vcc, s[56:57], -1
	s_andn2_b64 s[50:51], s[50:51], exec
	s_and_b64 vcc, vcc, exec
	s_or_b64 s[50:51], s[50:51], vcc
.LBB0_84:                               ;   in Loop: Header=BB0_85 Depth=3
	s_or_b64 exec, exec, s[52:53]
	s_and_b64 vcc, exec, s[50:51]
	s_or_b64 s[48:49], vcc, s[48:49]
	s_andn2_b64 exec, exec, s[48:49]
	s_cbranch_execz .LBB0_89
.LBB0_85:                               ;   Parent Loop BB0_21 Depth=1
                                        ;     Parent Loop BB0_70 Depth=2
                                        ; =>    This Inner Loop Header: Depth=3
	s_waitcnt vmcnt(0) lgkmcnt(0)
	v_add_co_u32_e32 v4, vcc, 8, v52
	v_addc_co_u32_e32 v5, vcc, 0, v53, vcc
	v_cmp_lt_u64_e32 vcc, v[4:5], v[0:1]
	v_mov_b32_e32 v7, 0
	s_or_b64 s[50:51], s[50:51], exec
	s_and_saveexec_b64 s[52:53], vcc
	s_cbranch_execz .LBB0_84
; %bb.86:                               ;   in Loop: Header=BB0_85 Depth=3
	s_sleep 1
	flat_load_dwordx2 v[52:53], v[50:51] glc
	v_add_u32_e32 v3, 1, v3
	v_cmp_eq_u32_e32 vcc, s61, v3
	s_mov_b64 s[56:57], -1
	v_mov_b32_e32 v7, 0
	s_and_saveexec_b64 s[54:55], vcc
	s_cbranch_execz .LBB0_83
; %bb.87:                               ;   in Loop: Header=BB0_85 Depth=3
	s_trap 2
	ds_read_b64 v[4:5], v0
	v_mov_b32_e32 v3, 0
	v_mov_b32_e32 v7, 0
	s_waitcnt vmcnt(0) lgkmcnt(0)
	flat_load_dword v4, v[4:5] glc
	s_waitcnt vmcnt(0) lgkmcnt(0)
	buffer_invl2
	buffer_wbinvl1_vol
	v_cmp_ne_u32_e32 vcc, 0, v4
	s_and_saveexec_b64 s[58:59], vcc
	s_cbranch_execz .LBB0_82
; %bb.88:                               ;   in Loop: Header=BB0_85 Depth=3
	v_mov_b32_e32 v7, 1
	s_xor_b64 s[56:57], exec, -1
	ds_write_b32 v0, v4
	s_trap 2
	s_branch .LBB0_82
.LBB0_89:                               ;   in Loop: Header=BB0_70 Depth=2
	s_or_b64 exec, exec, s[48:49]
.LBB0_90:                               ;   in Loop: Header=BB0_70 Depth=2
	s_or_b64 exec, exec, s[46:47]
.LBB0_91:                               ;   in Loop: Header=BB0_70 Depth=2
	s_or_b64 exec, exec, s[44:45]
	s_and_saveexec_b64 s[44:45], s[8:9]
	s_cbranch_execz .LBB0_93
; %bb.92:                               ;   in Loop: Header=BB0_70 Depth=2
	v_and_b32_e32 v22, 0x7ffffff8, v14
	v_mov_b32_e32 v3, s23
	v_cmp_eq_u64_e32 vcc, s[36:37], v[22:23]
	v_accvgpr_read_b32 v4, a39
	v_cndmask_b32_e32 v4, v4, v3, vcc
	v_and_b32_e32 v3, 7, v14
	v_ashrrev_i32_e32 v5, 31, v4
	v_mad_u64_u32 v[8:9], vcc, v3, 24, v[12:13]
	flat_store_dwordx2 v[8:9], v[4:5] offset:8
	s_waitcnt vmcnt(0)
	v_accvgpr_read_b32 v8, a40
	v_accvgpr_read_b32 v9, a41
.LBB0_93:                               ;   in Loop: Header=BB0_70 Depth=2
	s_or_b64 exec, exec, s[44:45]
	v_pk_mov_b32 v[14:15], v[0:1], v[0:1] op_sel:[0,1]
	s_or_b64 exec, exec, s[20:21]
	s_and_saveexec_b64 s[20:21], s[10:11]
	s_cbranch_execz .LBB0_72
.LBB0_94:                               ;   in Loop: Header=BB0_70 Depth=2
	s_and_saveexec_b64 vcc, s[30:31]
	s_xor_b64 s[44:45], exec, vcc
	s_cbranch_execz .LBB0_109
; %bb.95:                               ;   in Loop: Header=BB0_70 Depth=2
	s_and_saveexec_b64 s[46:47], s[12:13]
	s_cbranch_execz .LBB0_108
; %bb.96:                               ;   in Loop: Header=BB0_70 Depth=2
	s_mov_b64 s[50:51], exec
	v_mbcnt_lo_u32_b32 v0, s50, 0
	v_mbcnt_hi_u32_b32 v0, s51, v0
	v_cmp_eq_u32_e32 vcc, 0, v0
	s_waitcnt vmcnt(0) lgkmcnt(0)
	buffer_wbinvl1_vol
	s_and_saveexec_b64 s[48:49], vcc
	s_cbranch_execz .LBB0_98
; %bb.97:                               ;   in Loop: Header=BB0_70 Depth=2
	s_bcnt1_i32_b64 vcc_lo, s[50:51]
	v_mov_b32_e32 v22, vcc_lo
	ds_add_u64 v0, v[22:23]
	s_trap 2
.LBB0_98:                               ;   in Loop: Header=BB0_70 Depth=2
	s_or_b64 exec, exec, s[48:49]
	s_trap 2
	ds_read_b64 v[0:1], v0
	v_accvgpr_read_b32 v4, a26
	v_add_co_u32_e32 v42, vcc, v42, v4
	v_accvgpr_read_b32 v3, a27
	v_addc_co_u32_e32 v43, vcc, v43, v3, vcc
	s_waitcnt lgkmcnt(0)
	v_cmp_lt_u64_e32 vcc, v[0:1], v[42:43]
	s_and_saveexec_b64 s[48:49], vcc
	s_cbranch_execz .LBB0_107
; %bb.99:                               ;   in Loop: Header=BB0_70 Depth=2
	s_mov_b32 s72, 0
	s_mov_b64 s[50:51], 0
                                        ; implicit-def: $sgpr52_sgpr53
                                        ; implicit-def: $sgpr54_sgpr55
	s_branch .LBB0_101
.LBB0_100:                              ;   in Loop: Header=BB0_101 Depth=3
	s_or_b64 exec, exec, s[58:59]
	s_and_b64 vcc, exec, vcc
	s_or_b64 s[50:51], vcc, s[50:51]
	s_andn2_b64 vcc, s[52:53], exec
	s_and_b64 s[52:53], s[54:55], exec
	s_or_b64 s[52:53], vcc, s[52:53]
	s_andn2_b64 exec, exec, s[50:51]
	s_cbranch_execz .LBB0_105
.LBB0_101:                              ;   Parent Loop BB0_21 Depth=1
                                        ;     Parent Loop BB0_70 Depth=2
                                        ; =>    This Inner Loop Header: Depth=3
	s_add_i32 s72, s72, 1
	s_cmpk_lg_i32 s72, 0x2710
	s_cselect_b64 s[56:57], -1, 0
	s_and_b64 vcc, exec, s[56:57]
                                        ; implicit-def: $sgpr58_sgpr59
	s_cbranch_vccnz .LBB0_103
; %bb.102:                              ;   in Loop: Header=BB0_101 Depth=3
	s_trap 2
	ds_read_b64 v[0:1], v0
	s_andn2_b64 s[56:57], s[56:57], exec
	s_mov_b32 s72, 0
	s_mov_b64 s[58:59], -1
	s_waitcnt lgkmcnt(0)
	flat_load_dword v0, v[0:1] glc
	s_waitcnt vmcnt(0) lgkmcnt(0)
	buffer_invl2
	buffer_wbinvl1_vol
	v_cmp_eq_u32_e32 vcc, 0, v0
	s_and_b64 vcc, vcc, exec
	s_or_b64 s[56:57], s[56:57], vcc
.LBB0_103:                              ;   in Loop: Header=BB0_101 Depth=3
	s_andn2_b64 s[54:55], s[54:55], exec
	s_and_b64 s[58:59], s[58:59], exec
	s_mov_b64 vcc, -1
	s_or_b64 s[54:55], s[54:55], s[58:59]
	s_and_saveexec_b64 s[58:59], s[56:57]
	s_cbranch_execz .LBB0_100
; %bb.104:                              ;   in Loop: Header=BB0_101 Depth=3
	s_sleep 1
	s_trap 2
	ds_read_b64 v[0:1], v0
	s_andn2_b64 s[54:55], s[54:55], exec
	s_waitcnt lgkmcnt(0)
	v_cmp_ge_u64_e32 vcc, v[0:1], v[42:43]
	s_orn2_b64 vcc, vcc, exec
	s_branch .LBB0_100
.LBB0_105:                              ;   in Loop: Header=BB0_70 Depth=2
	s_or_b64 exec, exec, s[50:51]
	s_and_saveexec_b64 vcc, s[52:53]
	s_xor_b64 vcc, exec, vcc
	s_cbranch_execz .LBB0_107
; %bb.106:                              ;   in Loop: Header=BB0_70 Depth=2
	v_mov_b32_e32 v0, 1
	ds_write_b32 v0, v0
	s_trap 2
.LBB0_107:                              ;   in Loop: Header=BB0_70 Depth=2
	s_or_b64 exec, exec, s[48:49]
	;;#ASMSTART
	s_wakeup
	;;#ASMEND
.LBB0_108:                              ;   in Loop: Header=BB0_70 Depth=2
	s_or_b64 exec, exec, s[46:47]
.LBB0_109:                              ;   in Loop: Header=BB0_70 Depth=2
	s_andn2_saveexec_b64 vcc, s[44:45]
	s_cbranch_execz .LBB0_111
; %bb.110:                              ;   in Loop: Header=BB0_70 Depth=2
	s_waitcnt vmcnt(0) lgkmcnt(0)
	buffer_wbinvl1_vol
	s_barrier
.LBB0_111:                              ;   in Loop: Header=BB0_70 Depth=2
	s_or_b64 exec, exec, vcc
	s_or_b64 exec, exec, s[20:21]
	v_mov_b32_e32 v0, v44
	s_and_saveexec_b64 s[44:45], s[18:19]
	s_cbranch_execz .LBB0_73
.LBB0_112:                              ;   in Loop: Header=BB0_70 Depth=2
	v_accvgpr_read_b32 v4, a44
	s_waitcnt vmcnt(0) lgkmcnt(0)
	v_ashrrev_i32_e32 v0, 31, v2
	v_accvgpr_read_b32 v3, a22
	v_accvgpr_read_b32 v5, a45
	;; [unrolled: 1-line block ×3, first 2 shown]
	v_mad_u64_u32 v[10:11], s[20:21], v3, v2, v[4:5]
	v_mul_lo_u32 v1, v1, v2
	v_mul_lo_u32 v0, v3, v0
	v_add3_u32 v11, v1, v11, v0
	v_and_b32_e32 v0, 7, v34
	v_mul_lo_u32 v0, v0, s60
	v_ashrrev_i32_e32 v1, 31, v0
	v_lshlrev_b64 v[0:1], 4, v[0:1]
	v_accvgpr_read_b32 v2, a16
	v_add_co_u32_e32 v55, vcc, v2, v0
	v_and_b32_e32 v0, 7, v28
	v_accvgpr_read_b32 v3, a17
	v_mul_lo_u32 v0, v0, s60
	v_addc_co_u32_e32 v57, vcc, v3, v1, vcc
	v_ashrrev_i32_e32 v1, 31, v0
	v_lshlrev_b64 v[0:1], 4, v[0:1]
	v_accvgpr_read_b32 v2, a18
	v_accvgpr_read_b32 v3, a19
	v_add_co_u32_e32 v49, vcc, v2, v0
	v_addc_co_u32_e32 v31, vcc, v3, v1, vcc
	v_mov_b32_e32 v1, v28
	v_add_co_u32_e64 v8, vcc, 0, 0
	v_add_u32_e32 v48, 1, v34
	v_addc_co_u32_e32 v3, vcc, 1, v1, vcc
	s_mov_b64 s[46:47], 0
	v_mov_b32_e32 v9, v21
	v_mov_b32_e32 v0, v44
	s_branch .LBB0_114
.LBB0_113:                              ;   in Loop: Header=BB0_114 Depth=3
	s_or_b64 exec, exec, s[20:21]
	v_lshlrev_b32_e32 v17, 8, v32
	v_add_co_u32_e32 v10, vcc, v10, v56
	v_perm_b32 v1, v17, v1, s67
	v_lshlrev_b32_e32 v17, 8, v60
	v_addc_co_u32_e32 v11, vcc, v11, v45, vcc
	v_lshlrev_b32_e32 v18, 24, v16
	v_perm_b32 v16, v17, v25, s67
	v_and_b32_e32 v2, 0xff, v33
	v_lshl_or_b32 v19, v61, 16, v16
	v_add_co_u32_e32 v16, vcc, v49, v4
	v_lshlrev_b32_e32 v2, 16, v2
	v_addc_co_u32_e32 v17, vcc, v31, v5, vcc
	v_sub_u32_e32 v9, v9, v56
	v_lshl_or_b32 v2, v24, 24, v2
	v_cmp_gt_i32_e32 vcc, 1, v9
	v_or3_b32 v2, v2, v1, v8
	v_or3_b32 v4, v18, v19, v8
	v_mov_b32_e32 v5, v3
	s_or_b64 s[46:47], vcc, s[46:47]
	v_add_u32_e32 v0, v0, v20
	global_store_dwordx4 v[16:17], v[2:5], off
	s_andn2_b64 exec, exec, s[46:47]
	s_cbranch_execz .LBB0_450
.LBB0_114:                              ;   Parent Loop BB0_21 Depth=1
                                        ;     Parent Loop BB0_70 Depth=2
                                        ; =>    This Loop Header: Depth=3
                                        ;         Child Loop BB0_122 Depth 4
	v_and_b32_e32 v4, -4, v10
	v_mov_b32_e32 v5, v11
	global_load_dword v2, v[4:5], off glc slc
	v_min_u32_e32 v1, 8, v9
	v_and_b32_e32 v16, 3, v10
	v_add_co_u32_e32 v16, vcc, v16, v1
	v_addc_co_u32_e64 v17, s[20:21], 0, 0, vcc
	v_mov_b32_e32 v60, 0
	v_cmp_lt_u64_e32 vcc, 4, v[16:17]
	v_mov_b32_e32 v61, 0
	s_and_saveexec_b64 s[20:21], vcc
	s_cbranch_execz .LBB0_116
; %bb.115:                              ;   in Loop: Header=BB0_114 Depth=3
	global_load_dword v61, v[4:5], off offset:4 glc slc
.LBB0_116:                              ;   in Loop: Header=BB0_114 Depth=3
	s_or_b64 exec, exec, s[20:21]
	v_cmp_lt_u64_e32 vcc, 8, v[16:17]
	s_and_saveexec_b64 s[20:21], vcc
	s_cbranch_execz .LBB0_118
; %bb.117:                              ;   in Loop: Header=BB0_114 Depth=3
	global_load_dword v60, v[4:5], off offset:8 glc slc
.LBB0_118:                              ;   in Loop: Header=BB0_114 Depth=3
	s_or_b64 exec, exec, s[20:21]
	v_ashrrev_i32_e32 v1, 31, v0
	v_lshlrev_b64 v[4:5], 4, v[0:1]
	v_add_co_u32_e32 v24, vcc, v55, v4
	v_addc_co_u32_e32 v25, vcc, v57, v5, vcc
	global_load_dwordx4 v[16:19], v[24:25], off glc slc
	v_cmp_eq_u32_e32 vcc, 0, v7
	s_and_saveexec_b64 s[48:49], vcc
	s_cbranch_execz .LBB0_130
; %bb.119:                              ;   in Loop: Header=BB0_114 Depth=3
	s_waitcnt vmcnt(0)
	v_cmp_ne_u32_e32 vcc, v48, v17
	v_cmp_ne_u32_e64 s[20:21], v48, v19
	s_or_b64 s[20:21], vcc, s[20:21]
	v_mov_b32_e32 v7, 0
	s_and_saveexec_b64 s[50:51], s[20:21]
	s_cbranch_execz .LBB0_129
; %bb.120:                              ;   in Loop: Header=BB0_114 Depth=3
	s_mov_b32 s56, 1
	s_mov_b64 s[52:53], 0
	v_mov_b32_e32 v7, 0
	s_branch .LBB0_122
.LBB0_121:                              ;   in Loop: Header=BB0_122 Depth=4
	s_or_b64 exec, exec, s[54:55]
	s_and_b64 s[20:21], exec, s[20:21]
	s_or_b64 s[52:53], s[20:21], s[52:53]
	s_andn2_b64 exec, exec, s[52:53]
	s_cbranch_execz .LBB0_128
.LBB0_122:                              ;   Parent Loop BB0_21 Depth=1
                                        ;     Parent Loop BB0_70 Depth=2
                                        ;       Parent Loop BB0_114 Depth=3
                                        ; =>      This Inner Loop Header: Depth=4
	global_load_dwordx4 v[16:19], v[24:25], off glc slc
	s_add_i32 s56, s56, 1
	s_cmpk_lg_i32 s56, 0x2710
	s_cbranch_scc1 .LBB0_126
; %bb.123:                              ;   in Loop: Header=BB0_122 Depth=4
	s_trap 2
	ds_read_b64 v[32:33], v0
	s_waitcnt vmcnt(0) lgkmcnt(0)
	flat_load_dword v1, v[32:33] glc
	s_waitcnt vmcnt(0) lgkmcnt(0)
	buffer_invl2
	buffer_wbinvl1_vol
	v_cmp_ne_u32_e32 vcc, 0, v1
	s_and_saveexec_b64 s[20:21], vcc
	s_cbranch_execz .LBB0_125
; %bb.124:                              ;   in Loop: Header=BB0_122 Depth=4
	v_mov_b32_e32 v7, 1
	ds_write_b32 v0, v1
	s_trap 2
.LBB0_125:                              ;   in Loop: Header=BB0_122 Depth=4
	s_or_b64 exec, exec, s[20:21]
	s_mov_b32 s56, 0
	v_mov_b32_e32 v1, v7
	v_cmp_eq_u32_e32 vcc, 0, v1
	s_mov_b64 s[20:21], -1
	s_and_saveexec_b64 s[54:55], vcc
	s_cbranch_execz .LBB0_121
	s_branch .LBB0_127
.LBB0_126:                              ;   in Loop: Header=BB0_122 Depth=4
	v_mov_b32_e32 v1, 0
	v_cmp_eq_u32_e32 vcc, 0, v1
	s_mov_b64 s[20:21], -1
	s_and_saveexec_b64 s[54:55], vcc
	s_cbranch_execz .LBB0_121
.LBB0_127:                              ;   in Loop: Header=BB0_122 Depth=4
	s_waitcnt vmcnt(0)
	v_cmp_eq_u32_e32 vcc, v48, v17
	v_cmp_eq_u32_e64 s[20:21], v48, v19
	s_and_b64 s[20:21], vcc, s[20:21]
	s_orn2_b64 s[20:21], s[20:21], exec
	s_branch .LBB0_121
.LBB0_128:                              ;   in Loop: Header=BB0_114 Depth=3
	s_or_b64 exec, exec, s[52:53]
.LBB0_129:                              ;   in Loop: Header=BB0_114 Depth=3
	s_or_b64 exec, exec, s[50:51]
.LBB0_130:                              ;   in Loop: Header=BB0_114 Depth=3
	s_or_b64 exec, exec, s[48:49]
	s_waitcnt vmcnt(0)
	v_lshlrev_b32_e32 v19, 3, v10
	v_alignbit_b32 v22, v61, v2, v19
	v_cmp_ne_u16_sdwa s[20:21], v16, v23 src0_sel:BYTE_0 src1_sel:DWORD
                                        ; implicit-def: $vgpr32
	s_and_saveexec_b64 vcc, s[14:15]
	s_xor_b64 s[48:49], exec, vcc
	s_cbranch_execz .LBB0_144
; %bb.131:                              ;   in Loop: Header=BB0_114 Depth=3
	v_mov_b32_e32 v2, 0
	v_mov_b32_e32 v1, 0
	s_and_saveexec_b64 s[50:51], s[20:21]
	s_cbranch_execz .LBB0_137
; %bb.132:                              ;   in Loop: Header=BB0_114 Depth=3
	v_cmp_ne_u16_sdwa vcc, v16, s63 src0_sel:BYTE_0 src1_sel:DWORD
	v_bfrev_b32_e32 v1, 1
	s_and_saveexec_b64 s[52:53], vcc
	s_cbranch_execz .LBB0_136
; %bb.133:                              ;   in Loop: Header=BB0_114 Depth=3
	v_and_b32_e32 v24, 0x7f, v16
	v_cmp_ne_u32_e32 vcc, s64, v24
	v_mov_b32_e32 v1, 0x7f800001
	s_and_saveexec_b64 s[54:55], vcc
	s_cbranch_execz .LBB0_135
; %bb.134:                              ;   in Loop: Header=BB0_114 Depth=3
	v_and_b32_e32 v1, 7, v16
	v_ffbh_u32_e32 v1, v1
	v_min_u32_e32 v1, 32, v1
	v_subrev_u32_e32 v26, 28, v1
	v_cmp_gt_u32_e32 vcc, 8, v24
	v_lshrrev_b32_e32 v25, 3, v24
	v_sub_u32_e32 v1, 29, v1
	v_cndmask_b32_e32 v24, 0, v26, vcc
	v_cndmask_b32_e32 v1, v25, v1, vcc
	v_lshlrev_b64 v[24:25], v24, v[16:17]
	v_lshlrev_b32_e32 v24, 20, v24
	v_lshlrev_b32_e32 v25, 24, v16
	v_and_b32_e32 v24, 0x700000, v24
	v_and_b32_e32 v25, 0x80000000, v25
	v_lshl_add_u32 v1, v1, 23, v46
	v_or3_b32 v1, v25, v1, v24
.LBB0_135:                              ;   in Loop: Header=BB0_114 Depth=3
	s_or_b64 exec, exec, s[54:55]
.LBB0_136:                              ;   in Loop: Header=BB0_114 Depth=3
	s_or_b64 exec, exec, s[52:53]
.LBB0_137:                              ;   in Loop: Header=BB0_114 Depth=3
	s_or_b64 exec, exec, s[50:51]
	v_cmp_ne_u16_sdwa vcc, v22, v23 src0_sel:BYTE_0 src1_sel:DWORD
	s_and_saveexec_b64 s[50:51], vcc
	s_cbranch_execz .LBB0_143
; %bb.138:                              ;   in Loop: Header=BB0_114 Depth=3
	v_cmp_ne_u16_sdwa vcc, v22, s63 src0_sel:BYTE_0 src1_sel:DWORD
	v_bfrev_b32_e32 v2, 1
	s_and_saveexec_b64 s[52:53], vcc
	s_cbranch_execz .LBB0_142
; %bb.139:                              ;   in Loop: Header=BB0_114 Depth=3
	v_and_b32_e32 v24, 0x7f, v22
	v_cmp_ne_u32_e32 vcc, s64, v24
	v_mov_b32_e32 v2, 0x7f800001
	s_and_saveexec_b64 s[54:55], vcc
	s_cbranch_execz .LBB0_141
; %bb.140:                              ;   in Loop: Header=BB0_114 Depth=3
	v_and_b32_e32 v2, 7, v22
	v_ffbh_u32_e32 v2, v2
	v_min_u32_e32 v2, 32, v2
	v_subrev_u32_e32 v26, 28, v2
	v_cmp_gt_u32_e32 vcc, 8, v24
	v_lshrrev_b32_e32 v25, 3, v24
	v_sub_u32_e32 v2, 29, v2
	v_cndmask_b32_e32 v24, 0, v26, vcc
	v_cndmask_b32_e32 v2, v25, v2, vcc
	v_lshlrev_b64 v[24:25], v24, v[22:23]
	v_lshlrev_b32_e32 v24, 20, v24
	v_lshlrev_b32_e32 v25, 24, v22
	v_and_b32_e32 v24, 0x700000, v24
	v_and_b32_e32 v25, 0x80000000, v25
	v_lshl_add_u32 v2, v2, 23, v46
	v_or3_b32 v2, v25, v2, v24
.LBB0_141:                              ;   in Loop: Header=BB0_114 Depth=3
	s_or_b64 exec, exec, s[54:55]
.LBB0_142:                              ;   in Loop: Header=BB0_114 Depth=3
	s_or_b64 exec, exec, s[52:53]
.LBB0_143:                              ;   in Loop: Header=BB0_114 Depth=3
	s_or_b64 exec, exec, s[50:51]
	v_max_f32_e32 v2, v2, v2
	v_max_f32_e32 v1, v1, v1
	;; [unrolled: 1-line block ×3, first 2 shown]
.LBB0_144:                              ;   in Loop: Header=BB0_114 Depth=3
	s_andn2_saveexec_b64 s[48:49], s[48:49]
	s_cbranch_execz .LBB0_158
; %bb.145:                              ;   in Loop: Header=BB0_114 Depth=3
	v_mov_b32_e32 v2, 0
	v_mov_b32_e32 v1, 0
	s_and_saveexec_b64 s[50:51], s[20:21]
	s_cbranch_execz .LBB0_151
; %bb.146:                              ;   in Loop: Header=BB0_114 Depth=3
	v_cmp_ne_u16_sdwa vcc, v16, s63 src0_sel:BYTE_0 src1_sel:DWORD
	v_bfrev_b32_e32 v1, 1
	s_and_saveexec_b64 s[20:21], vcc
	s_cbranch_execz .LBB0_150
; %bb.147:                              ;   in Loop: Header=BB0_114 Depth=3
	v_and_b32_e32 v24, 0x7f, v16
	v_cmp_ne_u32_e32 vcc, s64, v24
	v_mov_b32_e32 v1, 0x7f800001
	s_and_saveexec_b64 s[52:53], vcc
	s_cbranch_execz .LBB0_149
; %bb.148:                              ;   in Loop: Header=BB0_114 Depth=3
	v_and_b32_e32 v1, 7, v16
	v_ffbh_u32_e32 v1, v1
	v_min_u32_e32 v1, 32, v1
	v_subrev_u32_e32 v26, 28, v1
	v_cmp_gt_u32_e32 vcc, 8, v24
	v_lshrrev_b32_e32 v25, 3, v24
	v_sub_u32_e32 v1, 29, v1
	v_cndmask_b32_e32 v24, 0, v26, vcc
	v_cndmask_b32_e32 v1, v25, v1, vcc
	v_lshlrev_b64 v[24:25], v24, v[16:17]
	v_lshlrev_b32_e32 v17, 20, v24
	v_lshlrev_b32_e32 v24, 24, v16
	v_and_b32_e32 v17, 0x700000, v17
	v_and_b32_e32 v24, 0x80000000, v24
	v_lshl_add_u32 v1, v1, 23, v46
	v_or3_b32 v1, v24, v1, v17
.LBB0_149:                              ;   in Loop: Header=BB0_114 Depth=3
	s_or_b64 exec, exec, s[52:53]
.LBB0_150:                              ;   in Loop: Header=BB0_114 Depth=3
	s_or_b64 exec, exec, s[20:21]
.LBB0_151:                              ;   in Loop: Header=BB0_114 Depth=3
	s_or_b64 exec, exec, s[50:51]
	v_cmp_ne_u16_sdwa vcc, v22, v23 src0_sel:BYTE_0 src1_sel:DWORD
	s_and_saveexec_b64 s[20:21], vcc
	s_cbranch_execz .LBB0_157
; %bb.152:                              ;   in Loop: Header=BB0_114 Depth=3
	v_cmp_ne_u16_sdwa vcc, v22, s63 src0_sel:BYTE_0 src1_sel:DWORD
	v_bfrev_b32_e32 v2, 1
	s_and_saveexec_b64 s[50:51], vcc
	s_cbranch_execz .LBB0_156
; %bb.153:                              ;   in Loop: Header=BB0_114 Depth=3
	v_and_b32_e32 v17, 0x7f, v22
	v_cmp_ne_u32_e32 vcc, s64, v17
	v_mov_b32_e32 v2, 0x7f800001
	s_and_saveexec_b64 s[52:53], vcc
	s_cbranch_execz .LBB0_155
; %bb.154:                              ;   in Loop: Header=BB0_114 Depth=3
	v_and_b32_e32 v2, 7, v22
	v_ffbh_u32_e32 v2, v2
	v_min_u32_e32 v2, 32, v2
	v_subrev_u32_e32 v25, 28, v2
	v_cmp_gt_u32_e32 vcc, 8, v17
	v_lshrrev_b32_e32 v24, 3, v17
	v_sub_u32_e32 v2, 29, v2
	v_cndmask_b32_e32 v17, 0, v25, vcc
	v_cndmask_b32_e32 v2, v24, v2, vcc
	v_lshlrev_b64 v[24:25], v17, v[22:23]
	v_lshlrev_b32_e32 v17, 20, v24
	v_lshlrev_b32_e32 v24, 24, v22
	v_and_b32_e32 v17, 0x700000, v17
	v_and_b32_e32 v24, 0x80000000, v24
	v_lshl_add_u32 v2, v2, 23, v46
	v_or3_b32 v2, v24, v2, v17
.LBB0_155:                              ;   in Loop: Header=BB0_114 Depth=3
	s_or_b64 exec, exec, s[52:53]
.LBB0_156:                              ;   in Loop: Header=BB0_114 Depth=3
	s_or_b64 exec, exec, s[50:51]
.LBB0_157:                              ;   in Loop: Header=BB0_114 Depth=3
	s_or_b64 exec, exec, s[20:21]
	v_max_f32_e32 v2, v2, v2
	v_max_f32_e32 v1, v1, v1
	v_min_f32_e32 v32, v1, v2
.LBB0_158:                              ;   in Loop: Header=BB0_114 Depth=3
	s_or_b64 exec, exec, s[48:49]
	v_and_b32_sdwa v2, v32, s63 dst_sel:DWORD dst_unused:UNUSED_PAD src0_sel:BYTE_3 src1_sel:DWORD
	v_and_b32_e32 v40, 0x7f800000, v32
	v_mov_b32_e32 v41, v23
	v_and_b32_e32 v24, 0x7fffff, v32
	v_mov_b32_e32 v25, v23
	v_or_b32_e32 v1, 0x7e, v2
	v_cmp_ne_u64_e32 vcc, s[38:39], v[40:41]
	s_and_saveexec_b64 s[20:21], vcc
	s_xor_b64 s[48:49], exec, s[20:21]
	s_cbranch_execz .LBB0_168
; %bb.159:                              ;   in Loop: Header=BB0_114 Depth=3
	v_and_b32_e32 v40, 0x7fffffff, v32
	v_mov_b32_e32 v41, v23
	v_cmp_gt_u64_e32 vcc, s[40:41], v[40:41]
	s_and_saveexec_b64 s[50:51], vcc
	s_cbranch_execz .LBB0_167
; %bb.160:                              ;   in Loop: Header=BB0_114 Depth=3
	v_cmp_ne_u32_e32 vcc, 0, v32
	v_mov_b32_e32 v1, 0
	s_and_saveexec_b64 s[52:53], vcc
	s_cbranch_execz .LBB0_166
; %bb.161:                              ;   in Loop: Header=BB0_114 Depth=3
	v_bfe_u32 v1, v32, 23, 8
	v_sub_u32_e32 v26, 0x79, v1
	v_cmp_gt_u32_e32 vcc, s65, v1
	v_add_u32_e32 v17, 0xffffff81, v1
	v_cndmask_b32_e32 v26, 0, v26, vcc
	v_cmp_eq_u32_e32 vcc, 0, v1
	v_cndmask_b32_e32 v1, v17, v47, vcc
	v_cndmask_b32_e32 v17, v26, v30, vcc
	v_add_u32_e32 v26, 20, v17
	v_or_b32_e32 v27, 0x800000, v24
	v_lshlrev_b64 v[32:33], v26, -1
	v_cndmask_b32_e32 v24, v27, v24, vcc
	v_not_b32_e32 v27, v32
	v_not_b32_e32 v26, v33
	v_and_b32_e32 v40, v24, v27
	v_lshrrev_b64 v[24:25], v17, v[24:25]
	v_and_b32_e32 v41, 0, v26
	v_add_u32_e32 v26, 19, v17
	v_lshrrev_b32_e32 v32, 23, v24
	v_lshlrev_b64 v[26:27], v26, 1
	v_add3_u32 v32, v17, v1, v32
	v_bfe_u32 v1, v24, 20, 1
	v_add_u32_e32 v1, -1, v1
	v_cmp_eq_u64_e32 vcc, v[40:41], v[26:27]
	v_cndmask_b32_e32 v1, 0, v1, vcc
	v_add_u32_e32 v1, v1, v24
	v_and_b32_e32 v1, 0xfffff, v1
	v_add_co_u32_e32 v24, vcc, v1, v24
	v_add_u32_e32 v17, 6, v32
	v_addc_co_u32_e32 v25, vcc, 0, v25, vcc
	v_cmp_ne_u32_e32 vcc, 0, v17
                                        ; implicit-def: $vgpr1
	s_and_saveexec_b64 s[20:21], vcc
	s_xor_b64 s[20:21], exec, s[20:21]
; %bb.162:                              ;   in Loop: Header=BB0_114 Depth=3
	v_add_u32_e32 v1, 7, v32
	v_cmp_lt_u64_e32 vcc, s[42:43], v[24:25]
	v_cndmask_b32_e32 v1, v17, v1, vcc
	v_cndmask_b32_e64 v17, 0, 1, vcc
	v_lshrrev_b64 v[24:25], v17, v[24:25]
; %bb.163:                              ;   in Loop: Header=BB0_114 Depth=3
	s_andn2_saveexec_b64 s[20:21], s[20:21]
; %bb.164:                              ;   in Loop: Header=BB0_114 Depth=3
	v_bfe_u32 v1, v24, 23, 1
; %bb.165:                              ;   in Loop: Header=BB0_114 Depth=3
	s_or_b64 exec, exec, s[20:21]
	v_lshrrev_b64 v[24:25], 20, v[24:25]
	v_cmp_gt_i32_e32 vcc, 16, v1
	v_cndmask_b32_e32 v25, 0, v25, vcc
	v_cndmask_b32_e32 v24, 7, v24, vcc
	v_cmp_eq_u32_e32 vcc, 0, v1
	v_min_i32_e32 v1, 15, v1
	v_cmp_eq_u64_e64 s[20:21], 0, v[24:25]
	v_lshlrev_b32_e32 v1, 3, v1
	v_and_or_b32 v1, v24, 7, v1
	s_and_b64 s[20:21], vcc, s[20:21]
	v_cndmask_b32_e64 v1, v1, 0, s[20:21]
	v_or_b32_e32 v1, v1, v2
.LBB0_166:                              ;   in Loop: Header=BB0_114 Depth=3
	s_or_b64 exec, exec, s[52:53]
.LBB0_167:                              ;   in Loop: Header=BB0_114 Depth=3
	s_or_b64 exec, exec, s[50:51]
                                        ; implicit-def: $vgpr32
                                        ; implicit-def: $vgpr24_vgpr25
.LBB0_168:                              ;   in Loop: Header=BB0_114 Depth=3
	s_andn2_saveexec_b64 s[20:21], s[48:49]
; %bb.169:                              ;   in Loop: Header=BB0_114 Depth=3
	v_or_b32_sdwa v2, v32, s64 dst_sel:DWORD dst_unused:UNUSED_PAD src0_sel:BYTE_3 src1_sel:DWORD
	v_cmp_eq_u64_e32 vcc, 0, v[24:25]
	v_cndmask_b32_e32 v1, v2, v1, vcc
; %bb.170:                              ;   in Loop: Header=BB0_114 Depth=3
	s_or_b64 exec, exec, s[20:21]
	v_lshrrev_b16_e32 v24, 8, v16
	v_lshrrev_b16_e32 v2, 8, v22
	v_cmp_ne_u16_e32 vcc, 0, v24
                                        ; implicit-def: $vgpr17
	s_and_saveexec_b64 s[20:21], s[14:15]
	s_xor_b64 s[48:49], exec, s[20:21]
	s_cbranch_execz .LBB0_184
; %bb.171:                              ;   in Loop: Header=BB0_114 Depth=3
	v_mov_b32_e32 v25, 0
	v_mov_b32_e32 v17, 0
	s_and_saveexec_b64 s[50:51], vcc
	s_cbranch_execz .LBB0_177
; %bb.172:                              ;   in Loop: Header=BB0_114 Depth=3
	v_cmp_ne_u16_e64 s[20:21], s63, v24
	v_bfrev_b32_e32 v17, 1
	s_and_saveexec_b64 s[52:53], s[20:21]
	s_cbranch_execz .LBB0_176
; %bb.173:                              ;   in Loop: Header=BB0_114 Depth=3
	v_and_b32_e32 v32, 0x7f, v24
	v_cmp_ne_u32_e64 s[20:21], s64, v32
	v_mov_b32_e32 v17, 0x7f800001
	s_and_saveexec_b64 s[54:55], s[20:21]
	s_cbranch_execz .LBB0_175
; %bb.174:                              ;   in Loop: Header=BB0_114 Depth=3
	v_and_b32_e32 v17, 7, v24
	v_ffbh_u32_e32 v26, v17
	v_min_u32_e32 v36, 32, v26
	v_subrev_u32_e32 v26, 28, v36
	v_lshlrev_b64 v[26:27], v26, v[24:25]
	v_lshrrev_b32_e32 v33, 3, v32
	v_sub_u32_e32 v24, 29, v36
	v_and_b32_e32 v26, 7, v26
	v_cmp_gt_u32_e64 s[20:21], 8, v32
	v_cndmask_b32_e64 v24, v33, v24, s[20:21]
	v_cndmask_b32_e64 v17, v17, v26, s[20:21]
	v_lshlrev_b32_e32 v26, 16, v16
	v_lshlrev_b32_e32 v17, 20, v17
	v_and_b32_e32 v26, 0x80000000, v26
	v_lshl_add_u32 v24, v24, 23, v46
	v_or3_b32 v17, v26, v24, v17
.LBB0_175:                              ;   in Loop: Header=BB0_114 Depth=3
	s_or_b64 exec, exec, s[54:55]
.LBB0_176:                              ;   in Loop: Header=BB0_114 Depth=3
	s_or_b64 exec, exec, s[52:53]
.LBB0_177:                              ;   in Loop: Header=BB0_114 Depth=3
	s_or_b64 exec, exec, s[50:51]
	v_cmp_ne_u16_e64 s[20:21], 0, v2
	s_and_saveexec_b64 s[50:51], s[20:21]
	s_cbranch_execz .LBB0_183
; %bb.178:                              ;   in Loop: Header=BB0_114 Depth=3
	v_cmp_ne_u16_e64 s[20:21], s63, v2
	v_bfrev_b32_e32 v25, 1
	s_and_saveexec_b64 s[52:53], s[20:21]
	s_cbranch_execz .LBB0_182
; %bb.179:                              ;   in Loop: Header=BB0_114 Depth=3
	v_and_b32_e32 v24, 0x7f, v2
	v_cmp_ne_u32_e64 s[20:21], s64, v24
	v_mov_b32_e32 v25, 0x7f800001
	s_and_saveexec_b64 s[54:55], s[20:21]
	s_cbranch_execz .LBB0_181
; %bb.180:                              ;   in Loop: Header=BB0_114 Depth=3
	v_and_b32_e32 v25, 7, v2
	v_ffbh_u32_e32 v26, v25
	v_min_u32_e32 v33, 32, v26
	v_subrev_u32_e32 v26, 28, v33
	v_lshlrev_b64 v[26:27], v26, v[2:3]
	v_lshrrev_b32_e32 v32, 3, v24
	v_sub_u32_e32 v2, 29, v33
	v_and_b32_e32 v26, 7, v26
	v_cmp_gt_u32_e64 s[20:21], 8, v24
	v_cndmask_b32_e64 v2, v32, v2, s[20:21]
	v_cndmask_b32_e64 v24, v25, v26, s[20:21]
	v_lshlrev_b32_e32 v25, 16, v22
	v_lshlrev_b32_e32 v24, 20, v24
	v_and_b32_e32 v25, 0x80000000, v25
	v_lshl_add_u32 v2, v2, 23, v46
	v_or3_b32 v25, v25, v2, v24
.LBB0_181:                              ;   in Loop: Header=BB0_114 Depth=3
	s_or_b64 exec, exec, s[54:55]
.LBB0_182:                              ;   in Loop: Header=BB0_114 Depth=3
	s_or_b64 exec, exec, s[52:53]
.LBB0_183:                              ;   in Loop: Header=BB0_114 Depth=3
	s_or_b64 exec, exec, s[50:51]
	v_max_f32_e32 v2, v25, v25
	v_max_f32_e32 v17, v17, v17
	;; [unrolled: 1-line block ×3, first 2 shown]
                                        ; implicit-def: $vgpr2
                                        ; implicit-def: $vgpr24
.LBB0_184:                              ;   in Loop: Header=BB0_114 Depth=3
	s_andn2_saveexec_b64 s[20:21], s[48:49]
	s_cbranch_execz .LBB0_198
; %bb.185:                              ;   in Loop: Header=BB0_114 Depth=3
	v_mov_b32_e32 v25, 0
	v_mov_b32_e32 v17, 0
	s_and_saveexec_b64 s[48:49], vcc
	s_cbranch_execz .LBB0_191
; %bb.186:                              ;   in Loop: Header=BB0_114 Depth=3
	v_cmp_ne_u16_e32 vcc, s63, v24
	v_bfrev_b32_e32 v17, 1
	s_and_saveexec_b64 s[50:51], vcc
	s_cbranch_execz .LBB0_190
; %bb.187:                              ;   in Loop: Header=BB0_114 Depth=3
	v_and_b32_e32 v32, 0x7f, v24
	v_cmp_ne_u32_e32 vcc, s64, v32
	v_mov_b32_e32 v17, 0x7f800001
	s_and_saveexec_b64 s[52:53], vcc
	s_cbranch_execz .LBB0_189
; %bb.188:                              ;   in Loop: Header=BB0_114 Depth=3
	v_and_b32_e32 v17, 7, v24
	v_ffbh_u32_e32 v26, v17
	v_min_u32_e32 v36, 32, v26
	v_subrev_u32_e32 v26, 28, v36
	v_lshlrev_b64 v[26:27], v26, v[24:25]
	v_lshrrev_b32_e32 v33, 3, v32
	v_sub_u32_e32 v24, 29, v36
	v_and_b32_e32 v26, 7, v26
	v_cmp_gt_u32_e32 vcc, 8, v32
	v_cndmask_b32_e32 v24, v33, v24, vcc
	v_cndmask_b32_e32 v17, v17, v26, vcc
	v_lshlrev_b32_e32 v26, 16, v16
	v_lshlrev_b32_e32 v17, 20, v17
	v_and_b32_e32 v26, 0x80000000, v26
	v_lshl_add_u32 v24, v24, 23, v46
	v_or3_b32 v17, v26, v24, v17
.LBB0_189:                              ;   in Loop: Header=BB0_114 Depth=3
	s_or_b64 exec, exec, s[52:53]
.LBB0_190:                              ;   in Loop: Header=BB0_114 Depth=3
	s_or_b64 exec, exec, s[50:51]
.LBB0_191:                              ;   in Loop: Header=BB0_114 Depth=3
	s_or_b64 exec, exec, s[48:49]
	v_cmp_ne_u16_e32 vcc, 0, v2
	s_and_saveexec_b64 s[48:49], vcc
	s_cbranch_execz .LBB0_197
; %bb.192:                              ;   in Loop: Header=BB0_114 Depth=3
	v_cmp_ne_u16_e32 vcc, s63, v2
	v_bfrev_b32_e32 v25, 1
	s_and_saveexec_b64 s[50:51], vcc
	s_cbranch_execz .LBB0_196
; %bb.193:                              ;   in Loop: Header=BB0_114 Depth=3
	v_and_b32_e32 v24, 0x7f, v2
	v_cmp_ne_u32_e32 vcc, s64, v24
	v_mov_b32_e32 v25, 0x7f800001
	s_and_saveexec_b64 s[52:53], vcc
	s_cbranch_execz .LBB0_195
; %bb.194:                              ;   in Loop: Header=BB0_114 Depth=3
	v_and_b32_e32 v25, 7, v2
	v_ffbh_u32_e32 v26, v25
	v_min_u32_e32 v33, 32, v26
	v_subrev_u32_e32 v26, 28, v33
	v_lshlrev_b64 v[26:27], v26, v[2:3]
	v_lshrrev_b32_e32 v32, 3, v24
	v_sub_u32_e32 v2, 29, v33
	v_and_b32_e32 v26, 7, v26
	v_cmp_gt_u32_e32 vcc, 8, v24
	v_cndmask_b32_e32 v2, v32, v2, vcc
	v_cndmask_b32_e32 v24, v25, v26, vcc
	v_lshlrev_b32_e32 v25, 16, v22
	v_lshlrev_b32_e32 v24, 20, v24
	v_and_b32_e32 v25, 0x80000000, v25
	v_lshl_add_u32 v2, v2, 23, v46
	v_or3_b32 v25, v25, v2, v24
.LBB0_195:                              ;   in Loop: Header=BB0_114 Depth=3
	s_or_b64 exec, exec, s[52:53]
.LBB0_196:                              ;   in Loop: Header=BB0_114 Depth=3
	s_or_b64 exec, exec, s[50:51]
.LBB0_197:                              ;   in Loop: Header=BB0_114 Depth=3
	s_or_b64 exec, exec, s[48:49]
	v_max_f32_e32 v2, v25, v25
	v_max_f32_e32 v17, v17, v17
	v_min_f32_e32 v17, v17, v2
.LBB0_198:                              ;   in Loop: Header=BB0_114 Depth=3
	s_or_b64 exec, exec, s[20:21]
	v_and_b32_sdwa v2, v17, s63 dst_sel:DWORD dst_unused:UNUSED_PAD src0_sel:BYTE_3 src1_sel:DWORD
	v_and_b32_e32 v26, 0x7f800000, v17
	v_mov_b32_e32 v27, v23
	v_and_b32_e32 v24, 0x7fffff, v17
	v_mov_b32_e32 v25, v23
	v_or_b32_e32 v32, 0x7e, v2
	v_cmp_ne_u64_e32 vcc, s[38:39], v[26:27]
	s_and_saveexec_b64 s[20:21], vcc
	s_xor_b64 s[48:49], exec, s[20:21]
	s_cbranch_execz .LBB0_208
; %bb.199:                              ;   in Loop: Header=BB0_114 Depth=3
	v_and_b32_e32 v26, 0x7fffffff, v17
	v_mov_b32_e32 v27, v23
	v_cmp_gt_u64_e32 vcc, s[40:41], v[26:27]
	s_and_saveexec_b64 s[50:51], vcc
	s_cbranch_execz .LBB0_207
; %bb.200:                              ;   in Loop: Header=BB0_114 Depth=3
	v_cmp_ne_u32_e32 vcc, 0, v17
	v_mov_b32_e32 v32, 0
	s_and_saveexec_b64 s[52:53], vcc
	s_cbranch_execz .LBB0_206
; %bb.201:                              ;   in Loop: Header=BB0_114 Depth=3
	v_bfe_u32 v17, v17, 23, 8
	v_sub_u32_e32 v27, 0x79, v17
	v_cmp_gt_u32_e32 vcc, s65, v17
	v_cndmask_b32_e32 v27, 0, v27, vcc
	v_cmp_eq_u32_e32 vcc, 0, v17
	v_add_u32_e32 v26, 0xffffff81, v17
	v_cndmask_b32_e32 v33, v27, v30, vcc
	v_cndmask_b32_e32 v17, v26, v47, vcc
	v_add_u32_e32 v26, 20, v33
	v_or_b32_e32 v32, 0x800000, v24
	v_lshlrev_b64 v[26:27], v26, -1
	v_cndmask_b32_e32 v24, v32, v24, vcc
	v_not_b32_e32 v26, v26
	v_and_b32_e32 v26, v24, v26
	v_add_u32_e32 v32, 19, v33
	v_lshrrev_b64 v[24:25], v33, v[24:25]
	v_not_b32_e32 v27, v27
	v_lshlrev_b64 v[40:41], v32, 1
	v_lshrrev_b32_e32 v32, 23, v24
	v_and_b32_e32 v27, 0, v27
	v_add3_u32 v33, v33, v17, v32
	v_bfe_u32 v17, v24, 20, 1
	v_add_u32_e32 v17, -1, v17
	v_cmp_eq_u64_e32 vcc, v[26:27], v[40:41]
	v_cndmask_b32_e32 v17, 0, v17, vcc
	v_add_u32_e32 v17, v17, v24
	v_and_b32_e32 v17, 0xfffff, v17
	v_add_co_u32_e32 v24, vcc, v17, v24
	v_add_u32_e32 v32, 6, v33
	v_addc_co_u32_e32 v25, vcc, 0, v25, vcc
	v_cmp_ne_u32_e32 vcc, 0, v32
                                        ; implicit-def: $vgpr17
	s_and_saveexec_b64 s[20:21], vcc
	s_xor_b64 s[20:21], exec, s[20:21]
; %bb.202:                              ;   in Loop: Header=BB0_114 Depth=3
	v_cmp_lt_u64_e32 vcc, s[42:43], v[24:25]
	v_add_u32_e32 v17, 7, v33
	v_cndmask_b32_e64 v26, 0, 1, vcc
	v_cndmask_b32_e32 v17, v32, v17, vcc
	v_lshrrev_b64 v[24:25], v26, v[24:25]
; %bb.203:                              ;   in Loop: Header=BB0_114 Depth=3
	s_andn2_saveexec_b64 s[20:21], s[20:21]
; %bb.204:                              ;   in Loop: Header=BB0_114 Depth=3
	v_bfe_u32 v17, v24, 23, 1
; %bb.205:                              ;   in Loop: Header=BB0_114 Depth=3
	s_or_b64 exec, exec, s[20:21]
	v_lshrrev_b64 v[24:25], 20, v[24:25]
	v_cmp_gt_i32_e32 vcc, 16, v17
	v_cndmask_b32_e32 v25, 0, v25, vcc
	v_cndmask_b32_e32 v24, 7, v24, vcc
	v_cmp_eq_u32_e32 vcc, 0, v17
	v_min_i32_e32 v17, 15, v17
	v_cmp_eq_u64_e64 s[20:21], 0, v[24:25]
	v_lshlrev_b32_e32 v17, 3, v17
	v_and_or_b32 v17, v24, 7, v17
	s_and_b64 s[20:21], vcc, s[20:21]
	v_cndmask_b32_e64 v17, v17, 0, s[20:21]
	v_or_b32_e32 v32, v17, v2
.LBB0_206:                              ;   in Loop: Header=BB0_114 Depth=3
	s_or_b64 exec, exec, s[52:53]
.LBB0_207:                              ;   in Loop: Header=BB0_114 Depth=3
	s_or_b64 exec, exec, s[50:51]
                                        ; implicit-def: $vgpr17
                                        ; implicit-def: $vgpr24_vgpr25
.LBB0_208:                              ;   in Loop: Header=BB0_114 Depth=3
	s_andn2_saveexec_b64 s[20:21], s[48:49]
; %bb.209:                              ;   in Loop: Header=BB0_114 Depth=3
	v_or_b32_sdwa v2, v17, s64 dst_sel:DWORD dst_unused:UNUSED_PAD src0_sel:BYTE_3 src1_sel:DWORD
	v_cmp_eq_u64_e32 vcc, 0, v[24:25]
	v_cndmask_b32_e32 v32, v2, v32, vcc
; %bb.210:                              ;   in Loop: Header=BB0_114 Depth=3
	s_or_b64 exec, exec, s[20:21]
	v_lshrrev_b32_e32 v24, 16, v16
	v_lshrrev_b32_e32 v2, 16, v22
	v_cmp_ne_u16_sdwa s[20:21], v24, v23 src0_sel:BYTE_0 src1_sel:DWORD
                                        ; implicit-def: $vgpr17
	s_and_saveexec_b64 vcc, s[14:15]
	s_xor_b64 s[48:49], exec, vcc
	s_cbranch_execz .LBB0_224
; %bb.211:                              ;   in Loop: Header=BB0_114 Depth=3
	v_mov_b32_e32 v25, 0
	v_mov_b32_e32 v17, 0
	s_and_saveexec_b64 s[50:51], s[20:21]
	s_cbranch_execz .LBB0_217
; %bb.212:                              ;   in Loop: Header=BB0_114 Depth=3
	v_cmp_ne_u16_sdwa vcc, v24, s63 src0_sel:BYTE_0 src1_sel:DWORD
	v_bfrev_b32_e32 v17, 1
	s_and_saveexec_b64 s[52:53], vcc
	s_cbranch_execz .LBB0_216
; %bb.213:                              ;   in Loop: Header=BB0_114 Depth=3
	v_bfe_u32 v33, v16, 16, 7
	v_cmp_ne_u32_e32 vcc, s64, v33
	v_mov_b32_e32 v17, 0x7f800001
	s_and_saveexec_b64 s[54:55], vcc
	s_cbranch_execz .LBB0_215
; %bb.214:                              ;   in Loop: Header=BB0_114 Depth=3
	v_and_b32_e32 v17, 7, v24
	v_ffbh_u32_e32 v26, v17
	v_min_u32_e32 v37, 32, v26
	v_subrev_u32_e32 v26, 28, v37
	v_lshlrev_b64 v[26:27], v26, v[24:25]
	v_lshrrev_b32_e32 v36, 3, v33
	v_sub_u32_e32 v27, 29, v37
	v_and_b32_e32 v26, 7, v26
	v_cmp_gt_u32_e32 vcc, 8, v33
	v_cndmask_b32_e32 v27, v36, v27, vcc
	v_cndmask_b32_e32 v17, v17, v26, vcc
	v_lshlrev_b32_e32 v24, 24, v24
	v_lshlrev_b32_e32 v17, 20, v17
	v_and_b32_e32 v24, 0x80000000, v24
	v_lshl_add_u32 v26, v27, 23, v46
	v_or3_b32 v17, v24, v26, v17
.LBB0_215:                              ;   in Loop: Header=BB0_114 Depth=3
	s_or_b64 exec, exec, s[54:55]
.LBB0_216:                              ;   in Loop: Header=BB0_114 Depth=3
	s_or_b64 exec, exec, s[52:53]
.LBB0_217:                              ;   in Loop: Header=BB0_114 Depth=3
	s_or_b64 exec, exec, s[50:51]
	v_and_b32_sdwa v24, v22, s62 dst_sel:DWORD dst_unused:UNUSED_PAD src0_sel:WORD_1 src1_sel:DWORD
	v_cmp_ne_u16_e32 vcc, 0, v24
	s_and_saveexec_b64 s[50:51], vcc
	s_cbranch_execz .LBB0_223
; %bb.218:                              ;   in Loop: Header=BB0_114 Depth=3
	v_cmp_ne_u16_e32 vcc, s63, v24
	v_bfrev_b32_e32 v25, 1
	s_and_saveexec_b64 s[52:53], vcc
	s_cbranch_execz .LBB0_222
; %bb.219:                              ;   in Loop: Header=BB0_114 Depth=3
	v_bfe_u32 v24, v22, 16, 7
	v_cmp_ne_u32_e32 vcc, s64, v24
	v_mov_b32_e32 v25, 0x7f800001
	s_and_saveexec_b64 s[54:55], vcc
	s_cbranch_execz .LBB0_221
; %bb.220:                              ;   in Loop: Header=BB0_114 Depth=3
	v_and_b32_e32 v25, 7, v2
	v_ffbh_u32_e32 v26, v25
	v_min_u32_e32 v36, 32, v26
	v_subrev_u32_e32 v26, 28, v36
	v_lshlrev_b64 v[26:27], v26, v[2:3]
	v_lshrrev_b32_e32 v33, 3, v24
	v_sub_u32_e32 v2, 29, v36
	v_and_b32_e32 v26, 7, v26
	v_cmp_gt_u32_e32 vcc, 8, v24
	v_cndmask_b32_e32 v2, v33, v2, vcc
	v_cndmask_b32_e32 v24, v25, v26, vcc
	v_lshlrev_b32_sdwa v25, v6, v22 dst_sel:DWORD dst_unused:UNUSED_PAD src0_sel:DWORD src1_sel:WORD_1
	v_lshlrev_b32_e32 v24, 20, v24
	v_and_b32_e32 v25, 0x80000000, v25
	v_lshl_add_u32 v2, v2, 23, v46
	v_or3_b32 v25, v25, v2, v24
.LBB0_221:                              ;   in Loop: Header=BB0_114 Depth=3
	s_or_b64 exec, exec, s[54:55]
.LBB0_222:                              ;   in Loop: Header=BB0_114 Depth=3
	s_or_b64 exec, exec, s[52:53]
.LBB0_223:                              ;   in Loop: Header=BB0_114 Depth=3
	s_or_b64 exec, exec, s[50:51]
	v_max_f32_e32 v2, v25, v25
	v_max_f32_e32 v17, v17, v17
	;; [unrolled: 1-line block ×3, first 2 shown]
                                        ; implicit-def: $vgpr24
                                        ; implicit-def: $vgpr2
.LBB0_224:                              ;   in Loop: Header=BB0_114 Depth=3
	s_andn2_saveexec_b64 s[48:49], s[48:49]
	s_cbranch_execz .LBB0_238
; %bb.225:                              ;   in Loop: Header=BB0_114 Depth=3
	v_mov_b32_e32 v25, 0
	v_mov_b32_e32 v17, 0
	s_and_saveexec_b64 s[50:51], s[20:21]
	s_cbranch_execz .LBB0_231
; %bb.226:                              ;   in Loop: Header=BB0_114 Depth=3
	v_cmp_ne_u16_sdwa vcc, v24, s63 src0_sel:BYTE_0 src1_sel:DWORD
	v_bfrev_b32_e32 v17, 1
	s_and_saveexec_b64 s[20:21], vcc
	s_cbranch_execz .LBB0_230
; %bb.227:                              ;   in Loop: Header=BB0_114 Depth=3
	v_bfe_u32 v33, v16, 16, 7
	v_cmp_ne_u32_e32 vcc, s64, v33
	v_mov_b32_e32 v17, 0x7f800001
	s_and_saveexec_b64 s[52:53], vcc
	s_cbranch_execz .LBB0_229
; %bb.228:                              ;   in Loop: Header=BB0_114 Depth=3
	v_and_b32_e32 v17, 7, v24
	v_ffbh_u32_e32 v26, v17
	v_min_u32_e32 v37, 32, v26
	v_subrev_u32_e32 v26, 28, v37
	v_lshlrev_b64 v[26:27], v26, v[24:25]
	v_lshrrev_b32_e32 v36, 3, v33
	v_sub_u32_e32 v27, 29, v37
	v_and_b32_e32 v26, 7, v26
	v_cmp_gt_u32_e32 vcc, 8, v33
	v_cndmask_b32_e32 v27, v36, v27, vcc
	v_cndmask_b32_e32 v17, v17, v26, vcc
	v_lshlrev_b32_e32 v24, 24, v24
	v_lshlrev_b32_e32 v17, 20, v17
	v_and_b32_e32 v24, 0x80000000, v24
	v_lshl_add_u32 v26, v27, 23, v46
	v_or3_b32 v17, v24, v26, v17
.LBB0_229:                              ;   in Loop: Header=BB0_114 Depth=3
	s_or_b64 exec, exec, s[52:53]
.LBB0_230:                              ;   in Loop: Header=BB0_114 Depth=3
	s_or_b64 exec, exec, s[20:21]
.LBB0_231:                              ;   in Loop: Header=BB0_114 Depth=3
	s_or_b64 exec, exec, s[50:51]
	v_and_b32_sdwa v24, v22, s62 dst_sel:DWORD dst_unused:UNUSED_PAD src0_sel:WORD_1 src1_sel:DWORD
	v_cmp_ne_u16_e32 vcc, 0, v24
	s_and_saveexec_b64 s[20:21], vcc
	s_cbranch_execz .LBB0_237
; %bb.232:                              ;   in Loop: Header=BB0_114 Depth=3
	v_cmp_ne_u16_e32 vcc, s63, v24
	v_bfrev_b32_e32 v25, 1
	s_and_saveexec_b64 s[50:51], vcc
	s_cbranch_execz .LBB0_236
; %bb.233:                              ;   in Loop: Header=BB0_114 Depth=3
	v_bfe_u32 v24, v22, 16, 7
	v_cmp_ne_u32_e32 vcc, s64, v24
	v_mov_b32_e32 v25, 0x7f800001
	s_and_saveexec_b64 s[52:53], vcc
	s_cbranch_execz .LBB0_235
; %bb.234:                              ;   in Loop: Header=BB0_114 Depth=3
	v_and_b32_e32 v25, 7, v2
	v_ffbh_u32_e32 v26, v25
	v_min_u32_e32 v36, 32, v26
	v_subrev_u32_e32 v26, 28, v36
	v_lshlrev_b64 v[26:27], v26, v[2:3]
	v_lshrrev_b32_e32 v33, 3, v24
	v_sub_u32_e32 v2, 29, v36
	v_and_b32_e32 v26, 7, v26
	v_cmp_gt_u32_e32 vcc, 8, v24
	v_cndmask_b32_e32 v2, v33, v2, vcc
	v_cndmask_b32_e32 v24, v25, v26, vcc
	v_lshlrev_b32_sdwa v25, v6, v22 dst_sel:DWORD dst_unused:UNUSED_PAD src0_sel:DWORD src1_sel:WORD_1
	v_lshlrev_b32_e32 v24, 20, v24
	v_and_b32_e32 v25, 0x80000000, v25
	v_lshl_add_u32 v2, v2, 23, v46
	v_or3_b32 v25, v25, v2, v24
.LBB0_235:                              ;   in Loop: Header=BB0_114 Depth=3
	s_or_b64 exec, exec, s[52:53]
.LBB0_236:                              ;   in Loop: Header=BB0_114 Depth=3
	s_or_b64 exec, exec, s[50:51]
.LBB0_237:                              ;   in Loop: Header=BB0_114 Depth=3
	s_or_b64 exec, exec, s[20:21]
	v_max_f32_e32 v2, v25, v25
	v_max_f32_e32 v17, v17, v17
	v_min_f32_e32 v17, v17, v2
.LBB0_238:                              ;   in Loop: Header=BB0_114 Depth=3
	s_or_b64 exec, exec, s[48:49]
	v_and_b32_sdwa v2, v17, s63 dst_sel:DWORD dst_unused:UNUSED_PAD src0_sel:BYTE_3 src1_sel:DWORD
	v_and_b32_e32 v26, 0x7f800000, v17
	v_mov_b32_e32 v27, v23
	v_and_b32_e32 v24, 0x7fffff, v17
	v_mov_b32_e32 v25, v23
	v_or_b32_e32 v33, 0x7e, v2
	v_cmp_ne_u64_e32 vcc, s[38:39], v[26:27]
	s_and_saveexec_b64 s[20:21], vcc
	s_xor_b64 s[48:49], exec, s[20:21]
	s_cbranch_execz .LBB0_248
; %bb.239:                              ;   in Loop: Header=BB0_114 Depth=3
	v_and_b32_e32 v26, 0x7fffffff, v17
	v_mov_b32_e32 v27, v23
	v_cmp_gt_u64_e32 vcc, s[40:41], v[26:27]
	s_and_saveexec_b64 s[50:51], vcc
	s_cbranch_execz .LBB0_247
; %bb.240:                              ;   in Loop: Header=BB0_114 Depth=3
	v_cmp_ne_u32_e32 vcc, 0, v17
	v_mov_b32_e32 v33, 0
	s_and_saveexec_b64 s[52:53], vcc
	s_cbranch_execz .LBB0_246
; %bb.241:                              ;   in Loop: Header=BB0_114 Depth=3
	v_bfe_u32 v17, v17, 23, 8
	v_sub_u32_e32 v27, 0x79, v17
	v_cmp_gt_u32_e32 vcc, s65, v17
	v_cndmask_b32_e32 v27, 0, v27, vcc
	v_cmp_eq_u32_e32 vcc, 0, v17
	v_add_u32_e32 v26, 0xffffff81, v17
	v_cndmask_b32_e32 v36, v27, v30, vcc
	v_cndmask_b32_e32 v17, v26, v47, vcc
	v_add_u32_e32 v26, 20, v36
	v_or_b32_e32 v33, 0x800000, v24
	v_lshlrev_b64 v[26:27], v26, -1
	v_cndmask_b32_e32 v24, v33, v24, vcc
	v_not_b32_e32 v26, v26
	v_and_b32_e32 v26, v24, v26
	v_add_u32_e32 v33, 19, v36
	v_lshrrev_b64 v[24:25], v36, v[24:25]
	v_not_b32_e32 v27, v27
	v_lshlrev_b64 v[40:41], v33, 1
	v_lshrrev_b32_e32 v33, 23, v24
	v_and_b32_e32 v27, 0, v27
	v_add3_u32 v62, v36, v17, v33
	v_bfe_u32 v17, v24, 20, 1
	v_add_u32_e32 v17, -1, v17
	v_cmp_eq_u64_e32 vcc, v[26:27], v[40:41]
	v_cndmask_b32_e32 v17, 0, v17, vcc
	v_add_u32_e32 v17, v17, v24
	v_and_b32_e32 v17, 0xfffff, v17
	v_add_co_u32_e32 v24, vcc, v17, v24
	v_add_u32_e32 v33, 6, v62
	v_addc_co_u32_e32 v25, vcc, 0, v25, vcc
	v_cmp_ne_u32_e32 vcc, 0, v33
                                        ; implicit-def: $vgpr17
	s_and_saveexec_b64 s[20:21], vcc
	s_xor_b64 s[20:21], exec, s[20:21]
; %bb.242:                              ;   in Loop: Header=BB0_114 Depth=3
	v_cmp_lt_u64_e32 vcc, s[42:43], v[24:25]
	v_add_u32_e32 v17, 7, v62
	v_cndmask_b32_e64 v26, 0, 1, vcc
	v_cndmask_b32_e32 v17, v33, v17, vcc
	v_lshrrev_b64 v[24:25], v26, v[24:25]
; %bb.243:                              ;   in Loop: Header=BB0_114 Depth=3
	s_andn2_saveexec_b64 s[20:21], s[20:21]
; %bb.244:                              ;   in Loop: Header=BB0_114 Depth=3
	v_bfe_u32 v17, v24, 23, 1
; %bb.245:                              ;   in Loop: Header=BB0_114 Depth=3
	s_or_b64 exec, exec, s[20:21]
	v_lshrrev_b64 v[24:25], 20, v[24:25]
	v_cmp_gt_i32_e32 vcc, 16, v17
	v_cndmask_b32_e32 v25, 0, v25, vcc
	v_cndmask_b32_e32 v24, 7, v24, vcc
	v_cmp_eq_u32_e32 vcc, 0, v17
	v_min_i32_e32 v17, 15, v17
	v_cmp_eq_u64_e64 s[20:21], 0, v[24:25]
	v_lshlrev_b32_e32 v17, 3, v17
	v_and_or_b32 v17, v24, 7, v17
	s_and_b64 s[20:21], vcc, s[20:21]
	v_cndmask_b32_e64 v17, v17, 0, s[20:21]
	v_or_b32_e32 v33, v17, v2
.LBB0_246:                              ;   in Loop: Header=BB0_114 Depth=3
	s_or_b64 exec, exec, s[52:53]
.LBB0_247:                              ;   in Loop: Header=BB0_114 Depth=3
	s_or_b64 exec, exec, s[50:51]
                                        ; implicit-def: $vgpr17
                                        ; implicit-def: $vgpr24_vgpr25
.LBB0_248:                              ;   in Loop: Header=BB0_114 Depth=3
	s_andn2_saveexec_b64 s[20:21], s[48:49]
; %bb.249:                              ;   in Loop: Header=BB0_114 Depth=3
	v_or_b32_sdwa v2, v17, s64 dst_sel:DWORD dst_unused:UNUSED_PAD src0_sel:BYTE_3 src1_sel:DWORD
	v_cmp_eq_u64_e32 vcc, 0, v[24:25]
	v_cndmask_b32_e32 v33, v2, v33, vcc
; %bb.250:                              ;   in Loop: Header=BB0_114 Depth=3
	s_or_b64 exec, exec, s[20:21]
	v_lshrrev_b32_e32 v24, 24, v16
	v_lshrrev_b32_e32 v2, 24, v22
	v_cmp_lt_u32_e32 vcc, s66, v16
                                        ; implicit-def: $vgpr17
	s_and_saveexec_b64 s[20:21], s[14:15]
	s_xor_b64 s[48:49], exec, s[20:21]
	s_cbranch_execz .LBB0_264
; %bb.251:                              ;   in Loop: Header=BB0_114 Depth=3
	v_mov_b32_e32 v25, 0
	v_mov_b32_e32 v17, 0
	s_and_saveexec_b64 s[50:51], vcc
	s_cbranch_execz .LBB0_257
; %bb.252:                              ;   in Loop: Header=BB0_114 Depth=3
	v_cmp_ne_u32_e64 s[20:21], s63, v24
	v_bfrev_b32_e32 v17, 1
	s_and_saveexec_b64 s[52:53], s[20:21]
	s_cbranch_execz .LBB0_256
; %bb.253:                              ;   in Loop: Header=BB0_114 Depth=3
	v_bfe_u32 v16, v16, 24, 7
	v_cmp_ne_u32_e64 s[20:21], s64, v16
	v_mov_b32_e32 v17, 0x7f800001
	s_and_saveexec_b64 s[54:55], s[20:21]
	s_cbranch_execz .LBB0_255
; %bb.254:                              ;   in Loop: Header=BB0_114 Depth=3
	v_and_b32_e32 v17, 7, v24
	v_ffbh_u32_e32 v26, v17
	v_min_u32_e32 v37, 32, v26
	v_subrev_u32_e32 v26, 28, v37
	v_lshlrev_b64 v[26:27], v26, v[24:25]
	v_lshrrev_b32_e32 v36, 3, v16
	v_sub_u32_e32 v27, 29, v37
	v_and_b32_e32 v26, 7, v26
	v_cmp_gt_u32_e64 s[20:21], 8, v16
	v_cndmask_b32_e64 v16, v36, v27, s[20:21]
	v_cndmask_b32_e64 v17, v17, v26, s[20:21]
	v_lshlrev_b32_e32 v24, 24, v24
	v_lshlrev_b32_e32 v17, 20, v17
	v_and_b32_e32 v24, 0x80000000, v24
	v_lshl_add_u32 v16, v16, 23, v46
	v_or3_b32 v17, v24, v16, v17
.LBB0_255:                              ;   in Loop: Header=BB0_114 Depth=3
	s_or_b64 exec, exec, s[54:55]
.LBB0_256:                              ;   in Loop: Header=BB0_114 Depth=3
	s_or_b64 exec, exec, s[52:53]
.LBB0_257:                              ;   in Loop: Header=BB0_114 Depth=3
	s_or_b64 exec, exec, s[50:51]
	v_cmp_lt_u32_e64 s[20:21], s66, v22
	s_and_saveexec_b64 s[50:51], s[20:21]
	s_cbranch_execz .LBB0_263
; %bb.258:                              ;   in Loop: Header=BB0_114 Depth=3
	v_cmp_ne_u32_sdwa s[20:21], v22, s63 src0_sel:BYTE_3 src1_sel:DWORD
	v_bfrev_b32_e32 v25, 1
	s_and_saveexec_b64 s[52:53], s[20:21]
	s_cbranch_execz .LBB0_262
; %bb.259:                              ;   in Loop: Header=BB0_114 Depth=3
	v_bfe_u32 v16, v22, 24, 7
	v_cmp_ne_u32_e64 s[20:21], s64, v16
	v_mov_b32_e32 v25, 0x7f800001
	s_and_saveexec_b64 s[54:55], s[20:21]
	s_cbranch_execz .LBB0_261
; %bb.260:                              ;   in Loop: Header=BB0_114 Depth=3
	v_and_b32_e32 v26, 7, v2
	v_ffbh_u32_e32 v24, v26
	v_min_u32_e32 v36, 32, v24
	v_subrev_u32_e32 v24, 28, v36
	v_lshlrev_b64 v[24:25], v24, v[2:3]
	v_lshrrev_b32_e32 v27, 3, v16
	v_sub_u32_e32 v2, 29, v36
	v_and_b32_e32 v24, 7, v24
	v_cmp_gt_u32_e64 s[20:21], 8, v16
	v_cndmask_b32_e64 v2, v27, v2, s[20:21]
	v_cndmask_b32_e64 v16, v26, v24, s[20:21]
	v_lshlrev_b32_sdwa v22, v6, v22 dst_sel:DWORD dst_unused:UNUSED_PAD src0_sel:DWORD src1_sel:BYTE_3
	v_lshlrev_b32_e32 v16, 20, v16
	v_and_b32_e32 v22, 0x80000000, v22
	v_lshl_add_u32 v2, v2, 23, v46
	v_or3_b32 v25, v22, v2, v16
.LBB0_261:                              ;   in Loop: Header=BB0_114 Depth=3
	s_or_b64 exec, exec, s[54:55]
.LBB0_262:                              ;   in Loop: Header=BB0_114 Depth=3
	s_or_b64 exec, exec, s[52:53]
.LBB0_263:                              ;   in Loop: Header=BB0_114 Depth=3
	s_or_b64 exec, exec, s[50:51]
	v_max_f32_e32 v2, v25, v25
	v_max_f32_e32 v16, v17, v17
	;; [unrolled: 1-line block ×3, first 2 shown]
                                        ; implicit-def: $vgpr24
                                        ; implicit-def: $vgpr2
.LBB0_264:                              ;   in Loop: Header=BB0_114 Depth=3
	s_andn2_saveexec_b64 s[20:21], s[48:49]
	s_cbranch_execz .LBB0_278
; %bb.265:                              ;   in Loop: Header=BB0_114 Depth=3
	v_mov_b32_e32 v25, 0
	v_mov_b32_e32 v17, 0
	s_and_saveexec_b64 s[48:49], vcc
	s_cbranch_execz .LBB0_271
; %bb.266:                              ;   in Loop: Header=BB0_114 Depth=3
	v_cmp_ne_u32_e32 vcc, s63, v24
	v_bfrev_b32_e32 v17, 1
	s_and_saveexec_b64 s[50:51], vcc
	s_cbranch_execz .LBB0_270
; %bb.267:                              ;   in Loop: Header=BB0_114 Depth=3
	v_bfe_u32 v16, v16, 24, 7
	v_cmp_ne_u32_e32 vcc, s64, v16
	v_mov_b32_e32 v17, 0x7f800001
	s_and_saveexec_b64 s[52:53], vcc
	s_cbranch_execz .LBB0_269
; %bb.268:                              ;   in Loop: Header=BB0_114 Depth=3
	v_and_b32_e32 v17, 7, v24
	v_ffbh_u32_e32 v26, v17
	v_min_u32_e32 v37, 32, v26
	v_subrev_u32_e32 v26, 28, v37
	v_lshlrev_b64 v[26:27], v26, v[24:25]
	v_lshrrev_b32_e32 v36, 3, v16
	v_sub_u32_e32 v27, 29, v37
	v_and_b32_e32 v26, 7, v26
	v_cmp_gt_u32_e32 vcc, 8, v16
	v_cndmask_b32_e32 v16, v36, v27, vcc
	v_cndmask_b32_e32 v17, v17, v26, vcc
	v_lshlrev_b32_e32 v24, 24, v24
	v_lshlrev_b32_e32 v17, 20, v17
	v_and_b32_e32 v24, 0x80000000, v24
	v_lshl_add_u32 v16, v16, 23, v46
	v_or3_b32 v17, v24, v16, v17
.LBB0_269:                              ;   in Loop: Header=BB0_114 Depth=3
	s_or_b64 exec, exec, s[52:53]
.LBB0_270:                              ;   in Loop: Header=BB0_114 Depth=3
	s_or_b64 exec, exec, s[50:51]
.LBB0_271:                              ;   in Loop: Header=BB0_114 Depth=3
	s_or_b64 exec, exec, s[48:49]
	v_cmp_lt_u32_e32 vcc, s66, v22
	s_and_saveexec_b64 s[48:49], vcc
	s_cbranch_execz .LBB0_277
; %bb.272:                              ;   in Loop: Header=BB0_114 Depth=3
	v_cmp_ne_u32_sdwa vcc, v22, s63 src0_sel:BYTE_3 src1_sel:DWORD
	v_bfrev_b32_e32 v25, 1
	s_and_saveexec_b64 s[50:51], vcc
	s_cbranch_execz .LBB0_276
; %bb.273:                              ;   in Loop: Header=BB0_114 Depth=3
	v_bfe_u32 v16, v22, 24, 7
	v_cmp_ne_u32_e32 vcc, s64, v16
	v_mov_b32_e32 v25, 0x7f800001
	s_and_saveexec_b64 s[52:53], vcc
	s_cbranch_execz .LBB0_275
; %bb.274:                              ;   in Loop: Header=BB0_114 Depth=3
	v_and_b32_e32 v26, 7, v2
	v_ffbh_u32_e32 v24, v26
	v_min_u32_e32 v36, 32, v24
	v_subrev_u32_e32 v24, 28, v36
	v_lshlrev_b64 v[24:25], v24, v[2:3]
	v_lshrrev_b32_e32 v27, 3, v16
	v_sub_u32_e32 v2, 29, v36
	v_and_b32_e32 v24, 7, v24
	v_cmp_gt_u32_e32 vcc, 8, v16
	v_cndmask_b32_e32 v2, v27, v2, vcc
	v_cndmask_b32_e32 v16, v26, v24, vcc
	v_lshlrev_b32_sdwa v22, v6, v22 dst_sel:DWORD dst_unused:UNUSED_PAD src0_sel:DWORD src1_sel:BYTE_3
	v_lshlrev_b32_e32 v16, 20, v16
	v_and_b32_e32 v22, 0x80000000, v22
	v_lshl_add_u32 v2, v2, 23, v46
	v_or3_b32 v25, v22, v2, v16
.LBB0_275:                              ;   in Loop: Header=BB0_114 Depth=3
	s_or_b64 exec, exec, s[52:53]
.LBB0_276:                              ;   in Loop: Header=BB0_114 Depth=3
	s_or_b64 exec, exec, s[50:51]
.LBB0_277:                              ;   in Loop: Header=BB0_114 Depth=3
	s_or_b64 exec, exec, s[48:49]
	v_max_f32_e32 v2, v25, v25
	v_max_f32_e32 v16, v17, v17
	v_min_f32_e32 v17, v16, v2
.LBB0_278:                              ;   in Loop: Header=BB0_114 Depth=3
	s_or_b64 exec, exec, s[20:21]
	v_and_b32_sdwa v2, v17, s63 dst_sel:DWORD dst_unused:UNUSED_PAD src0_sel:BYTE_3 src1_sel:DWORD
	v_and_b32_e32 v26, 0x7f800000, v17
	v_mov_b32_e32 v27, v23
	v_and_b32_e32 v22, 0x7fffff, v17
	v_or_b32_e32 v24, 0x7e, v2
	v_cmp_ne_u64_e32 vcc, s[38:39], v[26:27]
	s_and_saveexec_b64 s[20:21], vcc
	s_xor_b64 s[48:49], exec, s[20:21]
	s_cbranch_execz .LBB0_288
; %bb.279:                              ;   in Loop: Header=BB0_114 Depth=3
	v_and_b32_e32 v26, 0x7fffffff, v17
	v_mov_b32_e32 v27, v23
	v_cmp_gt_u64_e32 vcc, s[40:41], v[26:27]
	s_and_saveexec_b64 s[50:51], vcc
	s_cbranch_execz .LBB0_287
; %bb.280:                              ;   in Loop: Header=BB0_114 Depth=3
	v_cmp_ne_u32_e32 vcc, 0, v17
	v_mov_b32_e32 v24, 0
	s_and_saveexec_b64 s[52:53], vcc
	s_cbranch_execz .LBB0_286
; %bb.281:                              ;   in Loop: Header=BB0_114 Depth=3
	v_bfe_u32 v16, v17, 23, 8
	v_sub_u32_e32 v24, 0x79, v16
	v_cmp_gt_u32_e32 vcc, s65, v16
	v_cndmask_b32_e32 v24, 0, v24, vcc
	v_cmp_eq_u32_e32 vcc, 0, v16
	v_cndmask_b32_e32 v24, v24, v30, vcc
	v_add_u32_e32 v17, 0xffffff81, v16
	v_or_b32_e32 v25, 0x800000, v22
	v_add_u32_e32 v16, 20, v24
	v_cndmask_b32_e32 v40, v17, v47, vcc
	v_cndmask_b32_e32 v22, v25, v22, vcc
	v_lshlrev_b64 v[16:17], v16, -1
	v_not_b32_e32 v16, v16
	v_lshrrev_b64 v[36:37], v24, v[22:23]
	v_not_b32_e32 v17, v17
	v_and_b32_e32 v16, v22, v16
	v_add_u32_e32 v25, 19, v24
	v_lshrrev_b32_e32 v22, 23, v36
	v_and_b32_e32 v17, 0, v17
	v_lshlrev_b64 v[26:27], v25, 1
	v_add3_u32 v40, v24, v40, v22
	v_bfe_u32 v22, v36, 20, 1
	v_add_u32_e32 v22, -1, v22
	v_cmp_eq_u64_e32 vcc, v[16:17], v[26:27]
	v_cndmask_b32_e32 v16, 0, v22, vcc
	v_add_u32_e32 v16, v16, v36
	v_and_b32_e32 v16, 0xfffff, v16
	v_add_co_u32_e32 v16, vcc, v16, v36
	v_add_u32_e32 v25, 6, v40
	v_addc_co_u32_e32 v17, vcc, 0, v37, vcc
	v_cmp_ne_u32_e32 vcc, 0, v25
                                        ; implicit-def: $vgpr24
	s_and_saveexec_b64 s[20:21], vcc
	s_xor_b64 s[20:21], exec, s[20:21]
; %bb.282:                              ;   in Loop: Header=BB0_114 Depth=3
	v_add_u32_e32 v22, 7, v40
	v_cmp_lt_u64_e32 vcc, s[42:43], v[16:17]
	v_cndmask_b32_e32 v24, v25, v22, vcc
	v_cndmask_b32_e64 v22, 0, 1, vcc
	v_lshrrev_b64 v[16:17], v22, v[16:17]
; %bb.283:                              ;   in Loop: Header=BB0_114 Depth=3
	s_andn2_saveexec_b64 s[20:21], s[20:21]
; %bb.284:                              ;   in Loop: Header=BB0_114 Depth=3
	v_bfe_u32 v24, v16, 23, 1
; %bb.285:                              ;   in Loop: Header=BB0_114 Depth=3
	s_or_b64 exec, exec, s[20:21]
	v_lshrrev_b64 v[16:17], 20, v[16:17]
	v_cmp_gt_i32_e32 vcc, 16, v24
	v_cndmask_b32_e32 v17, 0, v17, vcc
	v_cndmask_b32_e32 v16, 7, v16, vcc
	v_cmp_eq_u64_e64 s[20:21], 0, v[16:17]
	v_min_i32_e32 v17, 15, v24
	v_cmp_eq_u32_e32 vcc, 0, v24
	v_lshlrev_b32_e32 v17, 3, v17
	v_and_or_b32 v16, v16, 7, v17
	s_and_b64 s[20:21], vcc, s[20:21]
	v_cndmask_b32_e64 v16, v16, 0, s[20:21]
	v_or_b32_e32 v24, v16, v2
.LBB0_286:                              ;   in Loop: Header=BB0_114 Depth=3
	s_or_b64 exec, exec, s[52:53]
.LBB0_287:                              ;   in Loop: Header=BB0_114 Depth=3
	s_or_b64 exec, exec, s[50:51]
                                        ; implicit-def: $vgpr17
.LBB0_288:                              ;   in Loop: Header=BB0_114 Depth=3
	s_andn2_saveexec_b64 s[20:21], s[48:49]
; %bb.289:                              ;   in Loop: Header=BB0_114 Depth=3
	v_or_b32_sdwa v2, v17, s64 dst_sel:DWORD dst_unused:UNUSED_PAD src0_sel:BYTE_3 src1_sel:DWORD
	v_cmp_eq_u64_e32 vcc, 0, v[22:23]
	v_cndmask_b32_e32 v24, v2, v24, vcc
; %bb.290:                              ;   in Loop: Header=BB0_114 Depth=3
	s_or_b64 exec, exec, s[20:21]
	v_alignbit_b32 v22, v60, v61, v19
	v_mov_b32_e32 v19, v23
	v_cmp_ne_u16_sdwa s[20:21], v18, v23 src0_sel:BYTE_0 src1_sel:DWORD
                                        ; implicit-def: $vgpr60
	s_and_saveexec_b64 vcc, s[14:15]
	s_xor_b64 s[48:49], exec, vcc
	s_cbranch_execz .LBB0_304
; %bb.291:                              ;   in Loop: Header=BB0_114 Depth=3
	v_mov_b32_e32 v16, 0
	v_mov_b32_e32 v2, 0
	s_and_saveexec_b64 s[50:51], s[20:21]
	s_cbranch_execz .LBB0_297
; %bb.292:                              ;   in Loop: Header=BB0_114 Depth=3
	v_cmp_ne_u16_sdwa vcc, v18, s63 src0_sel:BYTE_0 src1_sel:DWORD
	v_bfrev_b32_e32 v2, 1
	s_and_saveexec_b64 s[52:53], vcc
	s_cbranch_execz .LBB0_296
; %bb.293:                              ;   in Loop: Header=BB0_114 Depth=3
	v_and_b32_e32 v17, 0x7f, v18
	v_cmp_ne_u32_e32 vcc, s64, v17
	v_mov_b32_e32 v2, 0x7f800001
	s_and_saveexec_b64 s[54:55], vcc
	s_cbranch_execz .LBB0_295
; %bb.294:                              ;   in Loop: Header=BB0_114 Depth=3
	v_and_b32_e32 v2, 7, v18
	v_ffbh_u32_e32 v2, v2
	v_min_u32_e32 v2, 32, v2
	v_subrev_u32_e32 v26, 28, v2
	v_cmp_gt_u32_e32 vcc, 8, v17
	v_lshrrev_b32_e32 v25, 3, v17
	v_cndmask_b32_e32 v17, 0, v26, vcc
	v_sub_u32_e32 v2, 29, v2
	v_lshlrev_b64 v[26:27], v17, v[18:19]
	v_cndmask_b32_e32 v2, v25, v2, vcc
	v_lshlrev_b32_e32 v17, 20, v26
	v_lshlrev_b32_e32 v19, 24, v18
	v_and_b32_e32 v17, 0x700000, v17
	v_and_b32_e32 v19, 0x80000000, v19
	v_lshl_add_u32 v2, v2, 23, v46
	v_or3_b32 v2, v19, v2, v17
.LBB0_295:                              ;   in Loop: Header=BB0_114 Depth=3
	s_or_b64 exec, exec, s[54:55]
.LBB0_296:                              ;   in Loop: Header=BB0_114 Depth=3
	s_or_b64 exec, exec, s[52:53]
.LBB0_297:                              ;   in Loop: Header=BB0_114 Depth=3
	s_or_b64 exec, exec, s[50:51]
	v_cmp_ne_u16_sdwa vcc, v22, v23 src0_sel:BYTE_0 src1_sel:DWORD
	s_and_saveexec_b64 s[50:51], vcc
	s_cbranch_execz .LBB0_303
; %bb.298:                              ;   in Loop: Header=BB0_114 Depth=3
	v_cmp_ne_u16_sdwa vcc, v22, s63 src0_sel:BYTE_0 src1_sel:DWORD
	v_bfrev_b32_e32 v16, 1
	s_and_saveexec_b64 s[52:53], vcc
	s_cbranch_execz .LBB0_302
; %bb.299:                              ;   in Loop: Header=BB0_114 Depth=3
	v_and_b32_e32 v17, 0x7f, v22
	v_cmp_ne_u32_e32 vcc, s64, v17
	v_mov_b32_e32 v16, 0x7f800001
	s_and_saveexec_b64 s[54:55], vcc
	s_cbranch_execz .LBB0_301
; %bb.300:                              ;   in Loop: Header=BB0_114 Depth=3
	v_and_b32_e32 v16, 7, v22
	v_ffbh_u32_e32 v16, v16
	v_min_u32_e32 v16, 32, v16
	v_lshrrev_b32_e32 v19, 3, v17
	v_subrev_u32_e32 v25, 28, v16
	v_sub_u32_e32 v16, 29, v16
	v_cmp_gt_u32_e32 vcc, 8, v17
	v_cndmask_b32_e32 v19, v19, v16, vcc
	v_cndmask_b32_e32 v16, 0, v25, vcc
	v_lshlrev_b64 v[16:17], v16, v[22:23]
	v_lshlrev_b32_e32 v16, 20, v16
	v_lshlrev_b32_e32 v17, 24, v22
	v_and_b32_e32 v16, 0x700000, v16
	v_and_b32_e32 v17, 0x80000000, v17
	v_lshl_add_u32 v19, v19, 23, v46
	v_or3_b32 v16, v17, v19, v16
.LBB0_301:                              ;   in Loop: Header=BB0_114 Depth=3
	s_or_b64 exec, exec, s[54:55]
.LBB0_302:                              ;   in Loop: Header=BB0_114 Depth=3
	s_or_b64 exec, exec, s[52:53]
.LBB0_303:                              ;   in Loop: Header=BB0_114 Depth=3
	s_or_b64 exec, exec, s[50:51]
	v_max_f32_e32 v16, v16, v16
	v_max_f32_e32 v2, v2, v2
	;; [unrolled: 1-line block ×3, first 2 shown]
.LBB0_304:                              ;   in Loop: Header=BB0_114 Depth=3
	s_andn2_saveexec_b64 s[48:49], s[48:49]
	s_cbranch_execz .LBB0_318
; %bb.305:                              ;   in Loop: Header=BB0_114 Depth=3
	v_mov_b32_e32 v16, 0
	v_mov_b32_e32 v2, 0
	s_and_saveexec_b64 s[50:51], s[20:21]
	s_cbranch_execz .LBB0_311
; %bb.306:                              ;   in Loop: Header=BB0_114 Depth=3
	v_cmp_ne_u16_sdwa vcc, v18, s63 src0_sel:BYTE_0 src1_sel:DWORD
	v_bfrev_b32_e32 v2, 1
	s_and_saveexec_b64 s[20:21], vcc
	s_cbranch_execz .LBB0_310
; %bb.307:                              ;   in Loop: Header=BB0_114 Depth=3
	v_and_b32_e32 v17, 0x7f, v18
	v_cmp_ne_u32_e32 vcc, s64, v17
	v_mov_b32_e32 v2, 0x7f800001
	s_and_saveexec_b64 s[52:53], vcc
	s_cbranch_execz .LBB0_309
; %bb.308:                              ;   in Loop: Header=BB0_114 Depth=3
	v_and_b32_e32 v2, 7, v18
	v_ffbh_u32_e32 v2, v2
	v_min_u32_e32 v2, 32, v2
	v_subrev_u32_e32 v26, 28, v2
	v_cmp_gt_u32_e32 vcc, 8, v17
	v_lshrrev_b32_e32 v25, 3, v17
	v_cndmask_b32_e32 v17, 0, v26, vcc
	v_sub_u32_e32 v2, 29, v2
	v_lshlrev_b64 v[26:27], v17, v[18:19]
	v_cndmask_b32_e32 v2, v25, v2, vcc
	v_lshlrev_b32_e32 v17, 20, v26
	v_lshlrev_b32_e32 v19, 24, v18
	v_and_b32_e32 v17, 0x700000, v17
	v_and_b32_e32 v19, 0x80000000, v19
	v_lshl_add_u32 v2, v2, 23, v46
	v_or3_b32 v2, v19, v2, v17
.LBB0_309:                              ;   in Loop: Header=BB0_114 Depth=3
	s_or_b64 exec, exec, s[52:53]
.LBB0_310:                              ;   in Loop: Header=BB0_114 Depth=3
	s_or_b64 exec, exec, s[20:21]
.LBB0_311:                              ;   in Loop: Header=BB0_114 Depth=3
	s_or_b64 exec, exec, s[50:51]
	v_cmp_ne_u16_sdwa vcc, v22, v23 src0_sel:BYTE_0 src1_sel:DWORD
	s_and_saveexec_b64 s[20:21], vcc
	s_cbranch_execz .LBB0_317
; %bb.312:                              ;   in Loop: Header=BB0_114 Depth=3
	v_cmp_ne_u16_sdwa vcc, v22, s63 src0_sel:BYTE_0 src1_sel:DWORD
	v_bfrev_b32_e32 v16, 1
	s_and_saveexec_b64 s[50:51], vcc
	s_cbranch_execz .LBB0_316
; %bb.313:                              ;   in Loop: Header=BB0_114 Depth=3
	v_and_b32_e32 v17, 0x7f, v22
	v_cmp_ne_u32_e32 vcc, s64, v17
	v_mov_b32_e32 v16, 0x7f800001
	s_and_saveexec_b64 s[52:53], vcc
	s_cbranch_execz .LBB0_315
; %bb.314:                              ;   in Loop: Header=BB0_114 Depth=3
	v_and_b32_e32 v16, 7, v22
	v_ffbh_u32_e32 v16, v16
	v_min_u32_e32 v16, 32, v16
	v_lshrrev_b32_e32 v19, 3, v17
	v_subrev_u32_e32 v25, 28, v16
	v_sub_u32_e32 v16, 29, v16
	v_cmp_gt_u32_e32 vcc, 8, v17
	v_cndmask_b32_e32 v19, v19, v16, vcc
	v_cndmask_b32_e32 v16, 0, v25, vcc
	v_lshlrev_b64 v[16:17], v16, v[22:23]
	v_lshlrev_b32_e32 v16, 20, v16
	v_lshlrev_b32_e32 v17, 24, v22
	v_and_b32_e32 v16, 0x700000, v16
	v_and_b32_e32 v17, 0x80000000, v17
	v_lshl_add_u32 v19, v19, 23, v46
	v_or3_b32 v16, v17, v19, v16
.LBB0_315:                              ;   in Loop: Header=BB0_114 Depth=3
	s_or_b64 exec, exec, s[52:53]
.LBB0_316:                              ;   in Loop: Header=BB0_114 Depth=3
	s_or_b64 exec, exec, s[50:51]
.LBB0_317:                              ;   in Loop: Header=BB0_114 Depth=3
	s_or_b64 exec, exec, s[20:21]
	v_max_f32_e32 v16, v16, v16
	v_max_f32_e32 v2, v2, v2
	v_min_f32_e32 v60, v2, v16
.LBB0_318:                              ;   in Loop: Header=BB0_114 Depth=3
	s_or_b64 exec, exec, s[48:49]
	v_and_b32_sdwa v2, v60, s63 dst_sel:DWORD dst_unused:UNUSED_PAD src0_sel:BYTE_3 src1_sel:DWORD
	v_and_b32_e32 v26, 0x7f800000, v60
	v_mov_b32_e32 v27, v23
	v_and_b32_e32 v16, 0x7fffff, v60
	v_mov_b32_e32 v17, v23
	v_or_b32_e32 v25, 0x7e, v2
	v_cmp_ne_u64_e32 vcc, s[38:39], v[26:27]
	s_and_saveexec_b64 s[20:21], vcc
	s_xor_b64 s[48:49], exec, s[20:21]
	s_cbranch_execz .LBB0_328
; %bb.319:                              ;   in Loop: Header=BB0_114 Depth=3
	v_and_b32_e32 v26, 0x7fffffff, v60
	v_mov_b32_e32 v27, v23
	v_cmp_gt_u64_e32 vcc, s[40:41], v[26:27]
	s_and_saveexec_b64 s[50:51], vcc
	s_cbranch_execz .LBB0_327
; %bb.320:                              ;   in Loop: Header=BB0_114 Depth=3
	v_cmp_ne_u32_e32 vcc, 0, v60
	v_mov_b32_e32 v25, 0
	s_and_saveexec_b64 s[52:53], vcc
	s_cbranch_execz .LBB0_326
; %bb.321:                              ;   in Loop: Header=BB0_114 Depth=3
	v_bfe_u32 v19, v60, 23, 8
	v_sub_u32_e32 v26, 0x79, v19
	v_cmp_gt_u32_e32 vcc, s65, v19
	v_add_u32_e32 v25, 0xffffff81, v19
	v_cndmask_b32_e32 v26, 0, v26, vcc
	v_cmp_eq_u32_e32 vcc, 0, v19
	v_cndmask_b32_e32 v19, v25, v47, vcc
	v_cndmask_b32_e32 v25, v26, v30, vcc
	v_or_b32_e32 v27, 0x800000, v16
	v_add_u32_e32 v26, 20, v25
	v_cndmask_b32_e32 v16, v27, v16, vcc
	v_lshlrev_b64 v[26:27], v26, -1
	v_not_b32_e32 v26, v26
	v_and_b32_e32 v26, v16, v26
	v_lshrrev_b64 v[16:17], v25, v[16:17]
	v_not_b32_e32 v27, v27
	v_add_u32_e32 v36, 19, v25
	v_lshrrev_b32_e32 v40, 23, v16
	v_and_b32_e32 v27, 0, v27
	v_lshlrev_b64 v[36:37], v36, 1
	v_add3_u32 v60, v25, v19, v40
	v_bfe_u32 v19, v16, 20, 1
	v_add_u32_e32 v19, -1, v19
	v_cmp_eq_u64_e32 vcc, v[26:27], v[36:37]
	v_cndmask_b32_e32 v19, 0, v19, vcc
	v_add_u32_e32 v19, v19, v16
	v_and_b32_e32 v19, 0xfffff, v19
	v_add_co_u32_e32 v16, vcc, v19, v16
	v_add_u32_e32 v25, 6, v60
	v_addc_co_u32_e32 v17, vcc, 0, v17, vcc
	v_cmp_ne_u32_e32 vcc, 0, v25
                                        ; implicit-def: $vgpr19
	s_and_saveexec_b64 s[20:21], vcc
	s_xor_b64 s[20:21], exec, s[20:21]
; %bb.322:                              ;   in Loop: Header=BB0_114 Depth=3
	v_add_u32_e32 v19, 7, v60
	v_cmp_lt_u64_e32 vcc, s[42:43], v[16:17]
	v_cndmask_b32_e32 v19, v25, v19, vcc
	v_cndmask_b32_e64 v25, 0, 1, vcc
	v_lshrrev_b64 v[16:17], v25, v[16:17]
; %bb.323:                              ;   in Loop: Header=BB0_114 Depth=3
	s_andn2_saveexec_b64 s[20:21], s[20:21]
; %bb.324:                              ;   in Loop: Header=BB0_114 Depth=3
	v_bfe_u32 v19, v16, 23, 1
; %bb.325:                              ;   in Loop: Header=BB0_114 Depth=3
	s_or_b64 exec, exec, s[20:21]
	v_lshrrev_b64 v[16:17], 20, v[16:17]
	v_cmp_gt_i32_e32 vcc, 16, v19
	v_cndmask_b32_e32 v17, 0, v17, vcc
	v_cndmask_b32_e32 v16, 7, v16, vcc
	v_cmp_eq_u64_e64 s[20:21], 0, v[16:17]
	v_min_i32_e32 v17, 15, v19
	v_cmp_eq_u32_e32 vcc, 0, v19
	v_lshlrev_b32_e32 v17, 3, v17
	v_and_or_b32 v16, v16, 7, v17
	s_and_b64 s[20:21], vcc, s[20:21]
	v_cndmask_b32_e64 v16, v16, 0, s[20:21]
	v_or_b32_e32 v25, v16, v2
.LBB0_326:                              ;   in Loop: Header=BB0_114 Depth=3
	s_or_b64 exec, exec, s[52:53]
.LBB0_327:                              ;   in Loop: Header=BB0_114 Depth=3
	s_or_b64 exec, exec, s[50:51]
                                        ; implicit-def: $vgpr60
                                        ; implicit-def: $vgpr16_vgpr17
.LBB0_328:                              ;   in Loop: Header=BB0_114 Depth=3
	s_andn2_saveexec_b64 s[20:21], s[48:49]
; %bb.329:                              ;   in Loop: Header=BB0_114 Depth=3
	v_or_b32_sdwa v2, v60, s64 dst_sel:DWORD dst_unused:UNUSED_PAD src0_sel:BYTE_3 src1_sel:DWORD
	v_cmp_eq_u64_e32 vcc, 0, v[16:17]
	v_cndmask_b32_e32 v25, v2, v25, vcc
; %bb.330:                              ;   in Loop: Header=BB0_114 Depth=3
	s_or_b64 exec, exec, s[20:21]
	v_lshrrev_b16_e32 v16, 8, v18
	v_lshrrev_b16_e32 v2, 8, v22
	v_cmp_ne_u16_e32 vcc, 0, v16
                                        ; implicit-def: $vgpr19
	s_and_saveexec_b64 s[20:21], s[14:15]
	s_xor_b64 s[48:49], exec, s[20:21]
	s_cbranch_execz .LBB0_344
; %bb.331:                              ;   in Loop: Header=BB0_114 Depth=3
	v_mov_b32_e32 v19, 0
	v_mov_b32_e32 v17, 0
	s_and_saveexec_b64 s[50:51], vcc
	s_cbranch_execz .LBB0_337
; %bb.332:                              ;   in Loop: Header=BB0_114 Depth=3
	v_cmp_ne_u16_e64 s[20:21], s63, v16
	v_bfrev_b32_e32 v17, 1
	s_and_saveexec_b64 s[52:53], s[20:21]
	s_cbranch_execz .LBB0_336
; %bb.333:                              ;   in Loop: Header=BB0_114 Depth=3
	v_and_b32_e32 v60, 0x7f, v16
	v_cmp_ne_u32_e64 s[20:21], s64, v60
	v_mov_b32_e32 v17, 0x7f800001
	s_and_saveexec_b64 s[54:55], s[20:21]
	s_cbranch_execz .LBB0_335
; %bb.334:                              ;   in Loop: Header=BB0_114 Depth=3
	v_and_b32_e32 v26, 7, v16
	v_ffbh_u32_e32 v17, v26
	v_min_u32_e32 v36, 32, v17
	v_subrev_u32_e32 v17, 28, v36
	v_lshlrev_b64 v[16:17], v17, v[16:17]
	v_lshrrev_b32_e32 v27, 3, v60
	v_sub_u32_e32 v17, 29, v36
	v_and_b32_e32 v16, 7, v16
	v_cmp_gt_u32_e64 s[20:21], 8, v60
	v_cndmask_b32_e64 v17, v27, v17, s[20:21]
	v_cndmask_b32_e64 v16, v26, v16, s[20:21]
	v_lshlrev_b32_e32 v26, 16, v18
	v_lshlrev_b32_e32 v16, 20, v16
	v_and_b32_e32 v26, 0x80000000, v26
	v_lshl_add_u32 v17, v17, 23, v46
	v_or3_b32 v17, v26, v17, v16
.LBB0_335:                              ;   in Loop: Header=BB0_114 Depth=3
	s_or_b64 exec, exec, s[54:55]
.LBB0_336:                              ;   in Loop: Header=BB0_114 Depth=3
	s_or_b64 exec, exec, s[52:53]
.LBB0_337:                              ;   in Loop: Header=BB0_114 Depth=3
	s_or_b64 exec, exec, s[50:51]
	v_cmp_ne_u16_e64 s[20:21], 0, v2
	s_and_saveexec_b64 s[50:51], s[20:21]
	s_cbranch_execz .LBB0_343
; %bb.338:                              ;   in Loop: Header=BB0_114 Depth=3
	v_cmp_ne_u16_e64 s[20:21], s63, v2
	v_bfrev_b32_e32 v19, 1
	s_and_saveexec_b64 s[52:53], s[20:21]
	s_cbranch_execz .LBB0_342
; %bb.339:                              ;   in Loop: Header=BB0_114 Depth=3
	v_and_b32_e32 v16, 0x7f, v2
	v_cmp_ne_u32_e64 s[20:21], s64, v16
	v_mov_b32_e32 v19, 0x7f800001
	s_and_saveexec_b64 s[54:55], s[20:21]
	s_cbranch_execz .LBB0_341
; %bb.340:                              ;   in Loop: Header=BB0_114 Depth=3
	v_and_b32_e32 v19, 7, v2
	v_ffbh_u32_e32 v26, v19
	v_min_u32_e32 v37, 32, v26
	v_subrev_u32_e32 v26, 28, v37
	v_lshlrev_b64 v[26:27], v26, v[2:3]
	v_lshrrev_b32_e32 v36, 3, v16
	v_sub_u32_e32 v2, 29, v37
	v_and_b32_e32 v26, 7, v26
	v_cmp_gt_u32_e64 s[20:21], 8, v16
	v_cndmask_b32_e64 v2, v36, v2, s[20:21]
	v_cndmask_b32_e64 v16, v19, v26, s[20:21]
	v_lshlrev_b32_e32 v19, 16, v22
	v_lshlrev_b32_e32 v16, 20, v16
	v_and_b32_e32 v19, 0x80000000, v19
	v_lshl_add_u32 v2, v2, 23, v46
	v_or3_b32 v19, v19, v2, v16
.LBB0_341:                              ;   in Loop: Header=BB0_114 Depth=3
	s_or_b64 exec, exec, s[54:55]
.LBB0_342:                              ;   in Loop: Header=BB0_114 Depth=3
	s_or_b64 exec, exec, s[52:53]
.LBB0_343:                              ;   in Loop: Header=BB0_114 Depth=3
	s_or_b64 exec, exec, s[50:51]
	v_max_f32_e32 v2, v19, v19
	v_max_f32_e32 v16, v17, v17
	;; [unrolled: 1-line block ×3, first 2 shown]
                                        ; implicit-def: $vgpr2
                                        ; implicit-def: $vgpr16
.LBB0_344:                              ;   in Loop: Header=BB0_114 Depth=3
	s_andn2_saveexec_b64 s[20:21], s[48:49]
	s_cbranch_execz .LBB0_358
; %bb.345:                              ;   in Loop: Header=BB0_114 Depth=3
	v_mov_b32_e32 v19, 0
	v_mov_b32_e32 v17, 0
	s_and_saveexec_b64 s[48:49], vcc
	s_cbranch_execz .LBB0_351
; %bb.346:                              ;   in Loop: Header=BB0_114 Depth=3
	v_cmp_ne_u16_e32 vcc, s63, v16
	v_bfrev_b32_e32 v17, 1
	s_and_saveexec_b64 s[50:51], vcc
	s_cbranch_execz .LBB0_350
; %bb.347:                              ;   in Loop: Header=BB0_114 Depth=3
	v_and_b32_e32 v60, 0x7f, v16
	v_cmp_ne_u32_e32 vcc, s64, v60
	v_mov_b32_e32 v17, 0x7f800001
	s_and_saveexec_b64 s[52:53], vcc
	s_cbranch_execz .LBB0_349
; %bb.348:                              ;   in Loop: Header=BB0_114 Depth=3
	v_and_b32_e32 v26, 7, v16
	v_ffbh_u32_e32 v17, v26
	v_min_u32_e32 v36, 32, v17
	v_subrev_u32_e32 v17, 28, v36
	v_lshlrev_b64 v[16:17], v17, v[16:17]
	v_lshrrev_b32_e32 v27, 3, v60
	v_sub_u32_e32 v17, 29, v36
	v_and_b32_e32 v16, 7, v16
	v_cmp_gt_u32_e32 vcc, 8, v60
	v_cndmask_b32_e32 v17, v27, v17, vcc
	v_cndmask_b32_e32 v16, v26, v16, vcc
	v_lshlrev_b32_e32 v26, 16, v18
	v_lshlrev_b32_e32 v16, 20, v16
	v_and_b32_e32 v26, 0x80000000, v26
	v_lshl_add_u32 v17, v17, 23, v46
	v_or3_b32 v17, v26, v17, v16
.LBB0_349:                              ;   in Loop: Header=BB0_114 Depth=3
	s_or_b64 exec, exec, s[52:53]
.LBB0_350:                              ;   in Loop: Header=BB0_114 Depth=3
	s_or_b64 exec, exec, s[50:51]
.LBB0_351:                              ;   in Loop: Header=BB0_114 Depth=3
	s_or_b64 exec, exec, s[48:49]
	v_cmp_ne_u16_e32 vcc, 0, v2
	s_and_saveexec_b64 s[48:49], vcc
	s_cbranch_execz .LBB0_357
; %bb.352:                              ;   in Loop: Header=BB0_114 Depth=3
	v_cmp_ne_u16_e32 vcc, s63, v2
	v_bfrev_b32_e32 v19, 1
	s_and_saveexec_b64 s[50:51], vcc
	s_cbranch_execz .LBB0_356
; %bb.353:                              ;   in Loop: Header=BB0_114 Depth=3
	v_and_b32_e32 v16, 0x7f, v2
	v_cmp_ne_u32_e32 vcc, s64, v16
	v_mov_b32_e32 v19, 0x7f800001
	s_and_saveexec_b64 s[52:53], vcc
	s_cbranch_execz .LBB0_355
; %bb.354:                              ;   in Loop: Header=BB0_114 Depth=3
	v_and_b32_e32 v19, 7, v2
	v_ffbh_u32_e32 v26, v19
	v_min_u32_e32 v37, 32, v26
	v_subrev_u32_e32 v26, 28, v37
	v_lshlrev_b64 v[26:27], v26, v[2:3]
	v_lshrrev_b32_e32 v36, 3, v16
	v_sub_u32_e32 v2, 29, v37
	v_and_b32_e32 v26, 7, v26
	v_cmp_gt_u32_e32 vcc, 8, v16
	v_cndmask_b32_e32 v2, v36, v2, vcc
	v_cndmask_b32_e32 v16, v19, v26, vcc
	v_lshlrev_b32_e32 v19, 16, v22
	v_lshlrev_b32_e32 v16, 20, v16
	v_and_b32_e32 v19, 0x80000000, v19
	v_lshl_add_u32 v2, v2, 23, v46
	v_or3_b32 v19, v19, v2, v16
.LBB0_355:                              ;   in Loop: Header=BB0_114 Depth=3
	s_or_b64 exec, exec, s[52:53]
.LBB0_356:                              ;   in Loop: Header=BB0_114 Depth=3
	s_or_b64 exec, exec, s[50:51]
.LBB0_357:                              ;   in Loop: Header=BB0_114 Depth=3
	s_or_b64 exec, exec, s[48:49]
	v_max_f32_e32 v2, v19, v19
	v_max_f32_e32 v16, v17, v17
	v_min_f32_e32 v19, v16, v2
.LBB0_358:                              ;   in Loop: Header=BB0_114 Depth=3
	s_or_b64 exec, exec, s[20:21]
	v_and_b32_sdwa v2, v19, s63 dst_sel:DWORD dst_unused:UNUSED_PAD src0_sel:BYTE_3 src1_sel:DWORD
	v_and_b32_e32 v26, 0x7f800000, v19
	v_mov_b32_e32 v27, v23
	v_and_b32_e32 v16, 0x7fffff, v19
	v_mov_b32_e32 v17, v23
	v_or_b32_e32 v60, 0x7e, v2
	v_cmp_ne_u64_e32 vcc, s[38:39], v[26:27]
	s_and_saveexec_b64 s[20:21], vcc
	s_xor_b64 s[48:49], exec, s[20:21]
	s_cbranch_execz .LBB0_368
; %bb.359:                              ;   in Loop: Header=BB0_114 Depth=3
	v_and_b32_e32 v26, 0x7fffffff, v19
	v_mov_b32_e32 v27, v23
	v_cmp_gt_u64_e32 vcc, s[40:41], v[26:27]
	s_and_saveexec_b64 s[50:51], vcc
	s_cbranch_execz .LBB0_367
; %bb.360:                              ;   in Loop: Header=BB0_114 Depth=3
	v_cmp_ne_u32_e32 vcc, 0, v19
	v_mov_b32_e32 v60, 0
	s_and_saveexec_b64 s[52:53], vcc
	s_cbranch_execz .LBB0_366
; %bb.361:                              ;   in Loop: Header=BB0_114 Depth=3
	v_bfe_u32 v19, v19, 23, 8
	v_sub_u32_e32 v27, 0x79, v19
	v_cmp_gt_u32_e32 vcc, s65, v19
	v_cndmask_b32_e32 v27, 0, v27, vcc
	v_cmp_eq_u32_e32 vcc, 0, v19
	v_add_u32_e32 v26, 0xffffff81, v19
	v_cndmask_b32_e32 v40, v27, v30, vcc
	v_cndmask_b32_e32 v19, v26, v47, vcc
	v_add_u32_e32 v26, 20, v40
	v_or_b32_e32 v36, 0x800000, v16
	v_lshlrev_b64 v[26:27], v26, -1
	v_cndmask_b32_e32 v16, v36, v16, vcc
	v_not_b32_e32 v26, v26
	v_and_b32_e32 v26, v16, v26
	v_lshrrev_b64 v[16:17], v40, v[16:17]
	v_not_b32_e32 v27, v27
	v_add_u32_e32 v36, 19, v40
	v_lshrrev_b32_e32 v41, 23, v16
	v_and_b32_e32 v27, 0, v27
	v_lshlrev_b64 v[36:37], v36, 1
	v_add3_u32 v61, v40, v19, v41
	v_bfe_u32 v19, v16, 20, 1
	v_add_u32_e32 v19, -1, v19
	v_cmp_eq_u64_e32 vcc, v[26:27], v[36:37]
	v_cndmask_b32_e32 v19, 0, v19, vcc
	v_add_u32_e32 v19, v19, v16
	v_and_b32_e32 v19, 0xfffff, v19
	v_add_co_u32_e32 v16, vcc, v19, v16
	v_add_u32_e32 v60, 6, v61
	v_addc_co_u32_e32 v17, vcc, 0, v17, vcc
	v_cmp_ne_u32_e32 vcc, 0, v60
                                        ; implicit-def: $vgpr19
	s_and_saveexec_b64 s[20:21], vcc
	s_xor_b64 s[20:21], exec, s[20:21]
; %bb.362:                              ;   in Loop: Header=BB0_114 Depth=3
	v_cmp_lt_u64_e32 vcc, s[42:43], v[16:17]
	v_add_u32_e32 v19, 7, v61
	v_cndmask_b32_e64 v26, 0, 1, vcc
	v_cndmask_b32_e32 v19, v60, v19, vcc
	v_lshrrev_b64 v[16:17], v26, v[16:17]
; %bb.363:                              ;   in Loop: Header=BB0_114 Depth=3
	s_andn2_saveexec_b64 s[20:21], s[20:21]
; %bb.364:                              ;   in Loop: Header=BB0_114 Depth=3
	v_bfe_u32 v19, v16, 23, 1
; %bb.365:                              ;   in Loop: Header=BB0_114 Depth=3
	s_or_b64 exec, exec, s[20:21]
	v_lshrrev_b64 v[16:17], 20, v[16:17]
	v_cmp_gt_i32_e32 vcc, 16, v19
	v_cndmask_b32_e32 v17, 0, v17, vcc
	v_cndmask_b32_e32 v16, 7, v16, vcc
	v_cmp_eq_u64_e64 s[20:21], 0, v[16:17]
	v_min_i32_e32 v17, 15, v19
	v_cmp_eq_u32_e32 vcc, 0, v19
	v_lshlrev_b32_e32 v17, 3, v17
	v_and_or_b32 v16, v16, 7, v17
	s_and_b64 s[20:21], vcc, s[20:21]
	v_cndmask_b32_e64 v16, v16, 0, s[20:21]
	v_or_b32_e32 v60, v16, v2
.LBB0_366:                              ;   in Loop: Header=BB0_114 Depth=3
	s_or_b64 exec, exec, s[52:53]
.LBB0_367:                              ;   in Loop: Header=BB0_114 Depth=3
	s_or_b64 exec, exec, s[50:51]
                                        ; implicit-def: $vgpr19
                                        ; implicit-def: $vgpr16_vgpr17
.LBB0_368:                              ;   in Loop: Header=BB0_114 Depth=3
	s_andn2_saveexec_b64 s[20:21], s[48:49]
; %bb.369:                              ;   in Loop: Header=BB0_114 Depth=3
	v_or_b32_sdwa v2, v19, s64 dst_sel:DWORD dst_unused:UNUSED_PAD src0_sel:BYTE_3 src1_sel:DWORD
	v_cmp_eq_u64_e32 vcc, 0, v[16:17]
	v_cndmask_b32_e32 v60, v2, v60, vcc
; %bb.370:                              ;   in Loop: Header=BB0_114 Depth=3
	s_or_b64 exec, exec, s[20:21]
	v_lshrrev_b32_e32 v16, 16, v18
	v_lshrrev_b32_e32 v2, 16, v22
	v_cmp_ne_u16_sdwa s[20:21], v16, v23 src0_sel:BYTE_0 src1_sel:DWORD
                                        ; implicit-def: $vgpr19
	s_and_saveexec_b64 vcc, s[14:15]
	s_xor_b64 s[48:49], exec, vcc
	s_cbranch_execz .LBB0_384
; %bb.371:                              ;   in Loop: Header=BB0_114 Depth=3
	v_mov_b32_e32 v19, 0
	v_mov_b32_e32 v17, 0
	s_and_saveexec_b64 s[50:51], s[20:21]
	s_cbranch_execz .LBB0_377
; %bb.372:                              ;   in Loop: Header=BB0_114 Depth=3
	v_cmp_ne_u16_sdwa vcc, v16, s63 src0_sel:BYTE_0 src1_sel:DWORD
	v_bfrev_b32_e32 v17, 1
	s_and_saveexec_b64 s[52:53], vcc
	s_cbranch_execz .LBB0_376
; %bb.373:                              ;   in Loop: Header=BB0_114 Depth=3
	v_bfe_u32 v61, v18, 16, 7
	v_cmp_ne_u32_e32 vcc, s64, v61
	v_mov_b32_e32 v17, 0x7f800001
	s_and_saveexec_b64 s[54:55], vcc
	s_cbranch_execz .LBB0_375
; %bb.374:                              ;   in Loop: Header=BB0_114 Depth=3
	v_and_b32_e32 v17, 7, v16
	v_ffbh_u32_e32 v26, v17
	v_min_u32_e32 v37, 32, v26
	v_subrev_u32_e32 v26, 28, v37
	v_lshlrev_b64 v[26:27], v26, v[16:17]
	v_lshrrev_b32_e32 v36, 3, v61
	v_sub_u32_e32 v27, 29, v37
	v_and_b32_e32 v26, 7, v26
	v_cmp_gt_u32_e32 vcc, 8, v61
	v_cndmask_b32_e32 v27, v36, v27, vcc
	v_cndmask_b32_e32 v17, v17, v26, vcc
	v_lshlrev_b32_e32 v16, 24, v16
	v_lshlrev_b32_e32 v17, 20, v17
	v_and_b32_e32 v16, 0x80000000, v16
	v_lshl_add_u32 v26, v27, 23, v46
	v_or3_b32 v17, v16, v26, v17
.LBB0_375:                              ;   in Loop: Header=BB0_114 Depth=3
	s_or_b64 exec, exec, s[54:55]
.LBB0_376:                              ;   in Loop: Header=BB0_114 Depth=3
	s_or_b64 exec, exec, s[52:53]
.LBB0_377:                              ;   in Loop: Header=BB0_114 Depth=3
	s_or_b64 exec, exec, s[50:51]
	v_and_b32_sdwa v16, v22, s62 dst_sel:DWORD dst_unused:UNUSED_PAD src0_sel:WORD_1 src1_sel:DWORD
	v_cmp_ne_u16_e32 vcc, 0, v16
	s_and_saveexec_b64 s[50:51], vcc
	s_cbranch_execz .LBB0_383
; %bb.378:                              ;   in Loop: Header=BB0_114 Depth=3
	v_cmp_ne_u16_e32 vcc, s63, v16
	v_bfrev_b32_e32 v19, 1
	s_and_saveexec_b64 s[52:53], vcc
	s_cbranch_execz .LBB0_382
; %bb.379:                              ;   in Loop: Header=BB0_114 Depth=3
	v_bfe_u32 v16, v22, 16, 7
	v_cmp_ne_u32_e32 vcc, s64, v16
	v_mov_b32_e32 v19, 0x7f800001
	s_and_saveexec_b64 s[54:55], vcc
	s_cbranch_execz .LBB0_381
; %bb.380:                              ;   in Loop: Header=BB0_114 Depth=3
	v_and_b32_e32 v19, 7, v2
	v_ffbh_u32_e32 v26, v19
	v_min_u32_e32 v37, 32, v26
	v_subrev_u32_e32 v26, 28, v37
	v_lshlrev_b64 v[26:27], v26, v[2:3]
	v_lshrrev_b32_e32 v36, 3, v16
	v_sub_u32_e32 v2, 29, v37
	v_and_b32_e32 v26, 7, v26
	v_cmp_gt_u32_e32 vcc, 8, v16
	v_cndmask_b32_e32 v2, v36, v2, vcc
	v_cndmask_b32_e32 v16, v19, v26, vcc
	v_lshlrev_b32_sdwa v19, v6, v22 dst_sel:DWORD dst_unused:UNUSED_PAD src0_sel:DWORD src1_sel:WORD_1
	v_lshlrev_b32_e32 v16, 20, v16
	v_and_b32_e32 v19, 0x80000000, v19
	v_lshl_add_u32 v2, v2, 23, v46
	v_or3_b32 v19, v19, v2, v16
.LBB0_381:                              ;   in Loop: Header=BB0_114 Depth=3
	s_or_b64 exec, exec, s[54:55]
.LBB0_382:                              ;   in Loop: Header=BB0_114 Depth=3
	s_or_b64 exec, exec, s[52:53]
.LBB0_383:                              ;   in Loop: Header=BB0_114 Depth=3
	s_or_b64 exec, exec, s[50:51]
	v_max_f32_e32 v2, v19, v19
	v_max_f32_e32 v16, v17, v17
	;; [unrolled: 1-line block ×3, first 2 shown]
                                        ; implicit-def: $vgpr16
                                        ; implicit-def: $vgpr2
.LBB0_384:                              ;   in Loop: Header=BB0_114 Depth=3
	s_andn2_saveexec_b64 s[48:49], s[48:49]
	s_cbranch_execz .LBB0_398
; %bb.385:                              ;   in Loop: Header=BB0_114 Depth=3
	v_mov_b32_e32 v19, 0
	v_mov_b32_e32 v17, 0
	s_and_saveexec_b64 s[50:51], s[20:21]
	s_cbranch_execz .LBB0_391
; %bb.386:                              ;   in Loop: Header=BB0_114 Depth=3
	v_cmp_ne_u16_sdwa vcc, v16, s63 src0_sel:BYTE_0 src1_sel:DWORD
	v_bfrev_b32_e32 v17, 1
	s_and_saveexec_b64 s[20:21], vcc
	s_cbranch_execz .LBB0_390
; %bb.387:                              ;   in Loop: Header=BB0_114 Depth=3
	v_bfe_u32 v61, v18, 16, 7
	v_cmp_ne_u32_e32 vcc, s64, v61
	v_mov_b32_e32 v17, 0x7f800001
	s_and_saveexec_b64 s[52:53], vcc
	s_cbranch_execz .LBB0_389
; %bb.388:                              ;   in Loop: Header=BB0_114 Depth=3
	v_and_b32_e32 v17, 7, v16
	v_ffbh_u32_e32 v26, v17
	v_min_u32_e32 v37, 32, v26
	v_subrev_u32_e32 v26, 28, v37
	v_lshlrev_b64 v[26:27], v26, v[16:17]
	v_lshrrev_b32_e32 v36, 3, v61
	v_sub_u32_e32 v27, 29, v37
	v_and_b32_e32 v26, 7, v26
	v_cmp_gt_u32_e32 vcc, 8, v61
	v_cndmask_b32_e32 v27, v36, v27, vcc
	v_cndmask_b32_e32 v17, v17, v26, vcc
	v_lshlrev_b32_e32 v16, 24, v16
	v_lshlrev_b32_e32 v17, 20, v17
	v_and_b32_e32 v16, 0x80000000, v16
	v_lshl_add_u32 v26, v27, 23, v46
	v_or3_b32 v17, v16, v26, v17
.LBB0_389:                              ;   in Loop: Header=BB0_114 Depth=3
	s_or_b64 exec, exec, s[52:53]
.LBB0_390:                              ;   in Loop: Header=BB0_114 Depth=3
	s_or_b64 exec, exec, s[20:21]
.LBB0_391:                              ;   in Loop: Header=BB0_114 Depth=3
	s_or_b64 exec, exec, s[50:51]
	v_and_b32_sdwa v16, v22, s62 dst_sel:DWORD dst_unused:UNUSED_PAD src0_sel:WORD_1 src1_sel:DWORD
	v_cmp_ne_u16_e32 vcc, 0, v16
	s_and_saveexec_b64 s[20:21], vcc
	s_cbranch_execz .LBB0_397
; %bb.392:                              ;   in Loop: Header=BB0_114 Depth=3
	v_cmp_ne_u16_e32 vcc, s63, v16
	v_bfrev_b32_e32 v19, 1
	s_and_saveexec_b64 s[50:51], vcc
	s_cbranch_execz .LBB0_396
; %bb.393:                              ;   in Loop: Header=BB0_114 Depth=3
	v_bfe_u32 v16, v22, 16, 7
	v_cmp_ne_u32_e32 vcc, s64, v16
	v_mov_b32_e32 v19, 0x7f800001
	s_and_saveexec_b64 s[52:53], vcc
	s_cbranch_execz .LBB0_395
; %bb.394:                              ;   in Loop: Header=BB0_114 Depth=3
	v_and_b32_e32 v19, 7, v2
	v_ffbh_u32_e32 v26, v19
	v_min_u32_e32 v37, 32, v26
	v_subrev_u32_e32 v26, 28, v37
	v_lshlrev_b64 v[26:27], v26, v[2:3]
	v_lshrrev_b32_e32 v36, 3, v16
	v_sub_u32_e32 v2, 29, v37
	v_and_b32_e32 v26, 7, v26
	v_cmp_gt_u32_e32 vcc, 8, v16
	v_cndmask_b32_e32 v2, v36, v2, vcc
	v_cndmask_b32_e32 v16, v19, v26, vcc
	v_lshlrev_b32_sdwa v19, v6, v22 dst_sel:DWORD dst_unused:UNUSED_PAD src0_sel:DWORD src1_sel:WORD_1
	v_lshlrev_b32_e32 v16, 20, v16
	v_and_b32_e32 v19, 0x80000000, v19
	v_lshl_add_u32 v2, v2, 23, v46
	v_or3_b32 v19, v19, v2, v16
.LBB0_395:                              ;   in Loop: Header=BB0_114 Depth=3
	s_or_b64 exec, exec, s[52:53]
.LBB0_396:                              ;   in Loop: Header=BB0_114 Depth=3
	s_or_b64 exec, exec, s[50:51]
.LBB0_397:                              ;   in Loop: Header=BB0_114 Depth=3
	s_or_b64 exec, exec, s[20:21]
	v_max_f32_e32 v2, v19, v19
	v_max_f32_e32 v16, v17, v17
	v_min_f32_e32 v19, v16, v2
.LBB0_398:                              ;   in Loop: Header=BB0_114 Depth=3
	s_or_b64 exec, exec, s[48:49]
	v_and_b32_sdwa v2, v19, s63 dst_sel:DWORD dst_unused:UNUSED_PAD src0_sel:BYTE_3 src1_sel:DWORD
	v_and_b32_e32 v26, 0x7f800000, v19
	v_mov_b32_e32 v27, v23
	v_and_b32_e32 v16, 0x7fffff, v19
	v_mov_b32_e32 v17, v23
	v_or_b32_e32 v61, 0x7e, v2
	v_cmp_ne_u64_e32 vcc, s[38:39], v[26:27]
	s_and_saveexec_b64 s[20:21], vcc
	s_xor_b64 s[48:49], exec, s[20:21]
	s_cbranch_execz .LBB0_408
; %bb.399:                              ;   in Loop: Header=BB0_114 Depth=3
	v_and_b32_e32 v26, 0x7fffffff, v19
	v_mov_b32_e32 v27, v23
	v_cmp_gt_u64_e32 vcc, s[40:41], v[26:27]
	s_and_saveexec_b64 s[50:51], vcc
	s_cbranch_execz .LBB0_407
; %bb.400:                              ;   in Loop: Header=BB0_114 Depth=3
	v_cmp_ne_u32_e32 vcc, 0, v19
	v_mov_b32_e32 v61, 0
	s_and_saveexec_b64 s[52:53], vcc
	s_cbranch_execz .LBB0_406
; %bb.401:                              ;   in Loop: Header=BB0_114 Depth=3
	v_bfe_u32 v19, v19, 23, 8
	v_sub_u32_e32 v27, 0x79, v19
	v_cmp_gt_u32_e32 vcc, s65, v19
	v_cndmask_b32_e32 v27, 0, v27, vcc
	v_cmp_eq_u32_e32 vcc, 0, v19
	v_add_u32_e32 v26, 0xffffff81, v19
	v_cndmask_b32_e32 v40, v27, v30, vcc
	v_cndmask_b32_e32 v19, v26, v47, vcc
	v_add_u32_e32 v26, 20, v40
	v_or_b32_e32 v36, 0x800000, v16
	v_lshlrev_b64 v[26:27], v26, -1
	v_cndmask_b32_e32 v16, v36, v16, vcc
	v_not_b32_e32 v26, v26
	v_and_b32_e32 v26, v16, v26
	v_lshrrev_b64 v[16:17], v40, v[16:17]
	v_not_b32_e32 v27, v27
	v_add_u32_e32 v36, 19, v40
	v_lshrrev_b32_e32 v41, 23, v16
	v_and_b32_e32 v27, 0, v27
	v_lshlrev_b64 v[36:37], v36, 1
	v_add3_u32 v62, v40, v19, v41
	v_bfe_u32 v19, v16, 20, 1
	v_add_u32_e32 v19, -1, v19
	v_cmp_eq_u64_e32 vcc, v[26:27], v[36:37]
	v_cndmask_b32_e32 v19, 0, v19, vcc
	v_add_u32_e32 v19, v19, v16
	v_and_b32_e32 v19, 0xfffff, v19
	v_add_co_u32_e32 v16, vcc, v19, v16
	v_add_u32_e32 v61, 6, v62
	v_addc_co_u32_e32 v17, vcc, 0, v17, vcc
	v_cmp_ne_u32_e32 vcc, 0, v61
                                        ; implicit-def: $vgpr19
	s_and_saveexec_b64 s[20:21], vcc
	s_xor_b64 s[20:21], exec, s[20:21]
; %bb.402:                              ;   in Loop: Header=BB0_114 Depth=3
	v_cmp_lt_u64_e32 vcc, s[42:43], v[16:17]
	v_add_u32_e32 v19, 7, v62
	v_cndmask_b32_e64 v26, 0, 1, vcc
	v_cndmask_b32_e32 v19, v61, v19, vcc
	v_lshrrev_b64 v[16:17], v26, v[16:17]
; %bb.403:                              ;   in Loop: Header=BB0_114 Depth=3
	s_andn2_saveexec_b64 s[20:21], s[20:21]
; %bb.404:                              ;   in Loop: Header=BB0_114 Depth=3
	v_bfe_u32 v19, v16, 23, 1
; %bb.405:                              ;   in Loop: Header=BB0_114 Depth=3
	s_or_b64 exec, exec, s[20:21]
	v_lshrrev_b64 v[16:17], 20, v[16:17]
	v_cmp_gt_i32_e32 vcc, 16, v19
	v_cndmask_b32_e32 v17, 0, v17, vcc
	v_cndmask_b32_e32 v16, 7, v16, vcc
	v_cmp_eq_u64_e64 s[20:21], 0, v[16:17]
	v_min_i32_e32 v17, 15, v19
	v_lshlrev_b32_e32 v17, 3, v17
	v_cmp_eq_u32_e32 vcc, 0, v19
	v_and_b32_e32 v17, 0xf8, v17
	v_and_or_b32 v16, v16, 7, v17
	s_and_b64 s[20:21], vcc, s[20:21]
	v_cndmask_b32_e64 v16, v16, 0, s[20:21]
	v_or_b32_e32 v61, v16, v2
.LBB0_406:                              ;   in Loop: Header=BB0_114 Depth=3
	s_or_b64 exec, exec, s[52:53]
.LBB0_407:                              ;   in Loop: Header=BB0_114 Depth=3
	s_or_b64 exec, exec, s[50:51]
                                        ; implicit-def: $vgpr19
                                        ; implicit-def: $vgpr16_vgpr17
.LBB0_408:                              ;   in Loop: Header=BB0_114 Depth=3
	s_andn2_saveexec_b64 s[20:21], s[48:49]
; %bb.409:                              ;   in Loop: Header=BB0_114 Depth=3
	v_or_b32_sdwa v2, v19, s64 dst_sel:DWORD dst_unused:UNUSED_PAD src0_sel:BYTE_3 src1_sel:DWORD
	v_cmp_eq_u64_e32 vcc, 0, v[16:17]
	v_cndmask_b32_e32 v61, v2, v61, vcc
; %bb.410:                              ;   in Loop: Header=BB0_114 Depth=3
	s_or_b64 exec, exec, s[20:21]
	v_and_b32_e32 v26, 0xff000000, v18
	v_mov_b32_e32 v27, v23
	v_lshrrev_b32_e32 v16, 24, v18
	v_lshrrev_b32_e32 v2, 24, v22
	v_cmp_ne_u64_e32 vcc, 0, v[26:27]
                                        ; implicit-def: $vgpr17
	s_and_saveexec_b64 s[20:21], s[14:15]
	s_xor_b64 s[48:49], exec, s[20:21]
	s_cbranch_execz .LBB0_424
; %bb.411:                              ;   in Loop: Header=BB0_114 Depth=3
	v_mov_b32_e32 v19, 0
	v_mov_b32_e32 v17, 0
	s_and_saveexec_b64 s[50:51], vcc
	s_cbranch_execz .LBB0_417
; %bb.412:                              ;   in Loop: Header=BB0_114 Depth=3
	v_cmp_ne_u32_e64 s[20:21], s63, v16
	v_bfrev_b32_e32 v17, 1
	s_and_saveexec_b64 s[52:53], s[20:21]
	s_cbranch_execz .LBB0_416
; %bb.413:                              ;   in Loop: Header=BB0_114 Depth=3
	v_bfe_u32 v18, v18, 24, 7
	v_cmp_ne_u32_e64 s[20:21], s64, v18
	v_mov_b32_e32 v17, 0x7f800001
	s_and_saveexec_b64 s[54:55], s[20:21]
	s_cbranch_execz .LBB0_415
; %bb.414:                              ;   in Loop: Header=BB0_114 Depth=3
	v_and_b32_e32 v17, 7, v16
	v_ffbh_u32_e32 v26, v17
	v_min_u32_e32 v37, 32, v26
	v_subrev_u32_e32 v26, 28, v37
	v_lshlrev_b64 v[26:27], v26, v[16:17]
	v_lshrrev_b32_e32 v36, 3, v18
	v_sub_u32_e32 v27, 29, v37
	v_and_b32_e32 v26, 7, v26
	v_cmp_gt_u32_e64 s[20:21], 8, v18
	v_cndmask_b32_e64 v18, v36, v27, s[20:21]
	v_cndmask_b32_e64 v17, v17, v26, s[20:21]
	v_lshlrev_b32_e32 v16, 24, v16
	v_lshlrev_b32_e32 v17, 20, v17
	v_and_b32_e32 v16, 0x80000000, v16
	v_lshl_add_u32 v18, v18, 23, v46
	v_or3_b32 v17, v16, v18, v17
.LBB0_415:                              ;   in Loop: Header=BB0_114 Depth=3
	s_or_b64 exec, exec, s[54:55]
.LBB0_416:                              ;   in Loop: Header=BB0_114 Depth=3
	s_or_b64 exec, exec, s[52:53]
.LBB0_417:                              ;   in Loop: Header=BB0_114 Depth=3
	s_or_b64 exec, exec, s[50:51]
	v_cmp_lt_u32_e64 s[20:21], s66, v22
	s_and_saveexec_b64 s[50:51], s[20:21]
	s_cbranch_execz .LBB0_423
; %bb.418:                              ;   in Loop: Header=BB0_114 Depth=3
	v_cmp_ne_u32_sdwa s[20:21], v22, s63 src0_sel:BYTE_3 src1_sel:DWORD
	v_bfrev_b32_e32 v19, 1
	s_and_saveexec_b64 s[52:53], s[20:21]
	s_cbranch_execz .LBB0_422
; %bb.419:                              ;   in Loop: Header=BB0_114 Depth=3
	v_bfe_u32 v16, v22, 24, 7
	v_cmp_ne_u32_e64 s[20:21], s64, v16
	v_mov_b32_e32 v19, 0x7f800001
	s_and_saveexec_b64 s[54:55], s[20:21]
	s_cbranch_execz .LBB0_421
; %bb.420:                              ;   in Loop: Header=BB0_114 Depth=3
	v_and_b32_e32 v26, 7, v2
	v_ffbh_u32_e32 v18, v26
	v_min_u32_e32 v36, 32, v18
	v_subrev_u32_e32 v18, 28, v36
	v_lshlrev_b64 v[18:19], v18, v[2:3]
	v_lshrrev_b32_e32 v27, 3, v16
	v_sub_u32_e32 v2, 29, v36
	v_and_b32_e32 v18, 7, v18
	v_cmp_gt_u32_e64 s[20:21], 8, v16
	v_cndmask_b32_e64 v2, v27, v2, s[20:21]
	v_cndmask_b32_e64 v16, v26, v18, s[20:21]
	v_lshlrev_b32_sdwa v18, v6, v22 dst_sel:DWORD dst_unused:UNUSED_PAD src0_sel:DWORD src1_sel:BYTE_3
	v_lshlrev_b32_e32 v16, 20, v16
	v_and_b32_e32 v18, 0x80000000, v18
	v_lshl_add_u32 v2, v2, 23, v46
	v_or3_b32 v19, v18, v2, v16
.LBB0_421:                              ;   in Loop: Header=BB0_114 Depth=3
	s_or_b64 exec, exec, s[54:55]
.LBB0_422:                              ;   in Loop: Header=BB0_114 Depth=3
	s_or_b64 exec, exec, s[52:53]
.LBB0_423:                              ;   in Loop: Header=BB0_114 Depth=3
	s_or_b64 exec, exec, s[50:51]
	v_max_f32_e32 v2, v19, v19
	v_max_f32_e32 v16, v17, v17
	v_max_f32_e32 v17, v16, v2
                                        ; implicit-def: $vgpr16
                                        ; implicit-def: $vgpr2
                                        ; implicit-def: $vgpr18_vgpr19
.LBB0_424:                              ;   in Loop: Header=BB0_114 Depth=3
	s_andn2_saveexec_b64 s[20:21], s[48:49]
	s_cbranch_execz .LBB0_438
; %bb.425:                              ;   in Loop: Header=BB0_114 Depth=3
	v_mov_b32_e32 v19, 0
	v_mov_b32_e32 v17, 0
	s_and_saveexec_b64 s[48:49], vcc
	s_cbranch_execz .LBB0_431
; %bb.426:                              ;   in Loop: Header=BB0_114 Depth=3
	v_cmp_ne_u32_e32 vcc, s63, v16
	v_bfrev_b32_e32 v17, 1
	s_and_saveexec_b64 s[50:51], vcc
	s_cbranch_execz .LBB0_430
; %bb.427:                              ;   in Loop: Header=BB0_114 Depth=3
	v_bfe_u32 v18, v18, 24, 7
	v_cmp_ne_u32_e32 vcc, s64, v18
	v_mov_b32_e32 v17, 0x7f800001
	s_and_saveexec_b64 s[52:53], vcc
	s_cbranch_execz .LBB0_429
; %bb.428:                              ;   in Loop: Header=BB0_114 Depth=3
	v_and_b32_e32 v17, 7, v16
	v_ffbh_u32_e32 v26, v17
	v_min_u32_e32 v37, 32, v26
	v_subrev_u32_e32 v26, 28, v37
	v_lshlrev_b64 v[26:27], v26, v[16:17]
	v_lshrrev_b32_e32 v36, 3, v18
	v_sub_u32_e32 v27, 29, v37
	v_and_b32_e32 v26, 7, v26
	v_cmp_gt_u32_e32 vcc, 8, v18
	v_cndmask_b32_e32 v18, v36, v27, vcc
	v_cndmask_b32_e32 v17, v17, v26, vcc
	v_lshlrev_b32_e32 v16, 24, v16
	v_lshlrev_b32_e32 v17, 20, v17
	v_and_b32_e32 v16, 0x80000000, v16
	v_lshl_add_u32 v18, v18, 23, v46
	v_or3_b32 v17, v16, v18, v17
.LBB0_429:                              ;   in Loop: Header=BB0_114 Depth=3
	s_or_b64 exec, exec, s[52:53]
.LBB0_430:                              ;   in Loop: Header=BB0_114 Depth=3
	s_or_b64 exec, exec, s[50:51]
.LBB0_431:                              ;   in Loop: Header=BB0_114 Depth=3
	s_or_b64 exec, exec, s[48:49]
	v_cmp_lt_u32_e32 vcc, s66, v22
	s_and_saveexec_b64 s[48:49], vcc
	s_cbranch_execz .LBB0_437
; %bb.432:                              ;   in Loop: Header=BB0_114 Depth=3
	v_cmp_ne_u32_sdwa vcc, v22, s63 src0_sel:BYTE_3 src1_sel:DWORD
	v_bfrev_b32_e32 v19, 1
	s_and_saveexec_b64 s[50:51], vcc
	s_cbranch_execz .LBB0_436
; %bb.433:                              ;   in Loop: Header=BB0_114 Depth=3
	v_bfe_u32 v16, v22, 24, 7
	v_cmp_ne_u32_e32 vcc, s64, v16
	v_mov_b32_e32 v19, 0x7f800001
	s_and_saveexec_b64 s[52:53], vcc
	s_cbranch_execz .LBB0_435
; %bb.434:                              ;   in Loop: Header=BB0_114 Depth=3
	v_and_b32_e32 v26, 7, v2
	v_ffbh_u32_e32 v18, v26
	v_min_u32_e32 v36, 32, v18
	v_subrev_u32_e32 v18, 28, v36
	v_lshlrev_b64 v[18:19], v18, v[2:3]
	v_lshrrev_b32_e32 v27, 3, v16
	v_sub_u32_e32 v2, 29, v36
	v_and_b32_e32 v18, 7, v18
	v_cmp_gt_u32_e32 vcc, 8, v16
	v_cndmask_b32_e32 v2, v27, v2, vcc
	v_cndmask_b32_e32 v16, v26, v18, vcc
	v_lshlrev_b32_sdwa v18, v6, v22 dst_sel:DWORD dst_unused:UNUSED_PAD src0_sel:DWORD src1_sel:BYTE_3
	v_lshlrev_b32_e32 v16, 20, v16
	v_and_b32_e32 v18, 0x80000000, v18
	v_lshl_add_u32 v2, v2, 23, v46
	v_or3_b32 v19, v18, v2, v16
.LBB0_435:                              ;   in Loop: Header=BB0_114 Depth=3
	s_or_b64 exec, exec, s[52:53]
.LBB0_436:                              ;   in Loop: Header=BB0_114 Depth=3
	s_or_b64 exec, exec, s[50:51]
.LBB0_437:                              ;   in Loop: Header=BB0_114 Depth=3
	s_or_b64 exec, exec, s[48:49]
	v_max_f32_e32 v2, v19, v19
	v_max_f32_e32 v16, v17, v17
	v_min_f32_e32 v17, v16, v2
.LBB0_438:                              ;   in Loop: Header=BB0_114 Depth=3
	s_or_b64 exec, exec, s[20:21]
	v_and_b32_sdwa v2, v17, s63 dst_sel:DWORD dst_unused:UNUSED_PAD src0_sel:BYTE_3 src1_sel:DWORD
	v_and_b32_e32 v18, 0x7f800000, v17
	v_mov_b32_e32 v19, v23
	v_and_b32_e32 v22, 0x7fffff, v17
	v_or_b32_e32 v16, 0x7e, v2
	v_cmp_ne_u64_e32 vcc, s[38:39], v[18:19]
	s_and_saveexec_b64 s[20:21], vcc
	s_xor_b64 s[48:49], exec, s[20:21]
	s_cbranch_execz .LBB0_448
; %bb.439:                              ;   in Loop: Header=BB0_114 Depth=3
	v_and_b32_e32 v18, 0x7fffffff, v17
	v_mov_b32_e32 v19, v23
	v_cmp_gt_u64_e32 vcc, s[40:41], v[18:19]
	s_and_saveexec_b64 s[50:51], vcc
	s_cbranch_execz .LBB0_447
; %bb.440:                              ;   in Loop: Header=BB0_114 Depth=3
	v_cmp_ne_u32_e32 vcc, 0, v17
	v_mov_b32_e32 v16, 0
	s_and_saveexec_b64 s[52:53], vcc
	s_cbranch_execz .LBB0_446
; %bb.441:                              ;   in Loop: Header=BB0_114 Depth=3
	v_bfe_u32 v16, v17, 23, 8
	v_sub_u32_e32 v18, 0x79, v16
	v_cmp_gt_u32_e32 vcc, s65, v16
	v_cndmask_b32_e32 v18, 0, v18, vcc
	v_cmp_eq_u32_e32 vcc, 0, v16
	v_or_b32_e32 v19, 0x800000, v22
	v_cndmask_b32_e32 v18, v18, v30, vcc
	v_add_u32_e32 v17, 0xffffff81, v16
	v_cndmask_b32_e32 v22, v19, v22, vcc
	v_add_u32_e32 v16, 20, v18
	v_cndmask_b32_e32 v40, v17, v47, vcc
	v_lshlrev_b64 v[16:17], v16, -1
	v_add_u32_e32 v19, 19, v18
	v_lshrrev_b64 v[36:37], v18, v[22:23]
	v_not_b32_e32 v17, v17
	v_not_b32_e32 v16, v16
	v_lshlrev_b64 v[26:27], v19, 1
	v_lshrrev_b32_e32 v19, 23, v36
	v_and_b32_e32 v17, 0, v17
	v_and_b32_e32 v16, v22, v16
	v_add3_u32 v40, v18, v40, v19
	v_bfe_u32 v18, v36, 20, 1
	v_add_u32_e32 v18, -1, v18
	v_cmp_eq_u64_e32 vcc, v[16:17], v[26:27]
	v_cndmask_b32_e32 v16, 0, v18, vcc
	v_add_u32_e32 v16, v16, v36
	v_and_b32_e32 v16, 0xfffff, v16
	v_add_co_u32_e32 v16, vcc, v16, v36
	v_add_u32_e32 v19, 6, v40
	v_addc_co_u32_e32 v17, vcc, 0, v37, vcc
	v_cmp_ne_u32_e32 vcc, 0, v19
                                        ; implicit-def: $vgpr18
	s_and_saveexec_b64 s[20:21], vcc
	s_xor_b64 s[20:21], exec, s[20:21]
; %bb.442:                              ;   in Loop: Header=BB0_114 Depth=3
	v_add_u32_e32 v18, 7, v40
	v_cmp_lt_u64_e32 vcc, s[42:43], v[16:17]
	v_cndmask_b32_e32 v18, v19, v18, vcc
	v_cndmask_b32_e64 v19, 0, 1, vcc
	v_lshrrev_b64 v[16:17], v19, v[16:17]
; %bb.443:                              ;   in Loop: Header=BB0_114 Depth=3
	s_andn2_saveexec_b64 s[20:21], s[20:21]
; %bb.444:                              ;   in Loop: Header=BB0_114 Depth=3
	v_bfe_u32 v18, v16, 23, 1
; %bb.445:                              ;   in Loop: Header=BB0_114 Depth=3
	s_or_b64 exec, exec, s[20:21]
	v_lshrrev_b64 v[16:17], 20, v[16:17]
	v_cmp_gt_i32_e32 vcc, 16, v18
	v_cndmask_b32_e32 v17, 0, v17, vcc
	v_cndmask_b32_e32 v16, 7, v16, vcc
	v_cmp_eq_u64_e64 s[20:21], 0, v[16:17]
	v_min_i32_e32 v17, 15, v18
	v_lshlrev_b32_e32 v17, 3, v17
	v_cmp_eq_u32_e32 vcc, 0, v18
	v_and_b32_e32 v17, 0xf8, v17
	v_and_or_b32 v16, v16, 7, v17
	s_and_b64 s[20:21], vcc, s[20:21]
	v_cndmask_b32_e64 v16, v16, 0, s[20:21]
	v_or_b32_e32 v16, v16, v2
.LBB0_446:                              ;   in Loop: Header=BB0_114 Depth=3
	s_or_b64 exec, exec, s[52:53]
.LBB0_447:                              ;   in Loop: Header=BB0_114 Depth=3
	s_or_b64 exec, exec, s[50:51]
                                        ; implicit-def: $vgpr17
.LBB0_448:                              ;   in Loop: Header=BB0_114 Depth=3
	s_andn2_saveexec_b64 s[20:21], s[48:49]
	s_cbranch_execz .LBB0_113
; %bb.449:                              ;   in Loop: Header=BB0_114 Depth=3
	v_or_b32_sdwa v2, v17, s64 dst_sel:DWORD dst_unused:UNUSED_PAD src0_sel:BYTE_3 src1_sel:DWORD
	v_cmp_eq_u64_e32 vcc, 0, v[22:23]
	v_cndmask_b32_e32 v16, v2, v16, vcc
	s_branch .LBB0_113
.LBB0_450:                              ;   in Loop: Header=BB0_70 Depth=2
	s_or_b64 exec, exec, s[46:47]
	v_accvgpr_read_b32 v8, a40
	v_accvgpr_read_b32 v9, a41
	s_or_b64 exec, exec, s[44:45]
	s_and_saveexec_b64 s[20:21], s[10:11]
	s_cbranch_execz .LBB0_74
.LBB0_451:                              ;   in Loop: Header=BB0_70 Depth=2
	s_and_saveexec_b64 vcc, s[30:31]
	s_xor_b64 s[44:45], exec, vcc
	s_cbranch_execz .LBB0_466
; %bb.452:                              ;   in Loop: Header=BB0_70 Depth=2
	s_and_saveexec_b64 s[46:47], s[12:13]
	s_cbranch_execz .LBB0_465
; %bb.453:                              ;   in Loop: Header=BB0_70 Depth=2
	s_mov_b64 s[50:51], exec
	v_mbcnt_lo_u32_b32 v1, s50, 0
	v_mbcnt_hi_u32_b32 v1, s51, v1
	v_cmp_eq_u32_e32 vcc, 0, v1
	s_waitcnt vmcnt(0) lgkmcnt(0)
	buffer_wbinvl1_vol
	s_and_saveexec_b64 s[48:49], vcc
	s_cbranch_execz .LBB0_455
; %bb.454:                              ;   in Loop: Header=BB0_70 Depth=2
	s_bcnt1_i32_b64 vcc_lo, s[50:51]
	v_mov_b32_e32 v22, vcc_lo
	ds_add_u64 v0, v[22:23]
	s_trap 2
.LBB0_455:                              ;   in Loop: Header=BB0_70 Depth=2
	s_or_b64 exec, exec, s[48:49]
	s_trap 2
	ds_read_b64 v[2:3], v0
	v_accvgpr_read_b32 v4, a26
	v_add_co_u32_e32 v42, vcc, v42, v4
	v_accvgpr_read_b32 v1, a27
	v_addc_co_u32_e32 v43, vcc, v43, v1, vcc
	s_waitcnt lgkmcnt(0)
	v_cmp_lt_u64_e32 vcc, v[2:3], v[42:43]
	s_and_saveexec_b64 s[48:49], vcc
	s_cbranch_execz .LBB0_464
; %bb.456:                              ;   in Loop: Header=BB0_70 Depth=2
	s_mov_b32 s72, 0
	s_mov_b64 s[50:51], 0
                                        ; implicit-def: $sgpr52_sgpr53
                                        ; implicit-def: $sgpr54_sgpr55
	s_branch .LBB0_458
.LBB0_457:                              ;   in Loop: Header=BB0_458 Depth=3
	s_or_b64 exec, exec, s[58:59]
	s_and_b64 vcc, exec, vcc
	s_or_b64 s[50:51], vcc, s[50:51]
	s_andn2_b64 vcc, s[52:53], exec
	s_and_b64 s[52:53], s[54:55], exec
	s_or_b64 s[52:53], vcc, s[52:53]
	s_andn2_b64 exec, exec, s[50:51]
	s_cbranch_execz .LBB0_462
.LBB0_458:                              ;   Parent Loop BB0_21 Depth=1
                                        ;     Parent Loop BB0_70 Depth=2
                                        ; =>    This Inner Loop Header: Depth=3
	s_add_i32 s72, s72, 1
	s_cmpk_lg_i32 s72, 0x2710
	s_cselect_b64 s[56:57], -1, 0
	s_and_b64 vcc, exec, s[56:57]
                                        ; implicit-def: $sgpr58_sgpr59
	s_cbranch_vccnz .LBB0_460
; %bb.459:                              ;   in Loop: Header=BB0_458 Depth=3
	s_trap 2
	ds_read_b64 v[2:3], v0
	s_andn2_b64 s[56:57], s[56:57], exec
	s_mov_b32 s72, 0
	s_mov_b64 s[58:59], -1
	s_waitcnt lgkmcnt(0)
	flat_load_dword v1, v[2:3] glc
	s_waitcnt vmcnt(0) lgkmcnt(0)
	buffer_invl2
	buffer_wbinvl1_vol
	v_cmp_eq_u32_e32 vcc, 0, v1
	s_and_b64 vcc, vcc, exec
	s_or_b64 s[56:57], s[56:57], vcc
.LBB0_460:                              ;   in Loop: Header=BB0_458 Depth=3
	s_andn2_b64 s[54:55], s[54:55], exec
	s_and_b64 s[58:59], s[58:59], exec
	s_mov_b64 vcc, -1
	s_or_b64 s[54:55], s[54:55], s[58:59]
	s_and_saveexec_b64 s[58:59], s[56:57]
	s_cbranch_execz .LBB0_457
; %bb.461:                              ;   in Loop: Header=BB0_458 Depth=3
	s_sleep 1
	s_trap 2
	ds_read_b64 v[2:3], v0
	s_andn2_b64 s[54:55], s[54:55], exec
	s_waitcnt lgkmcnt(0)
	v_cmp_ge_u64_e32 vcc, v[2:3], v[42:43]
	s_orn2_b64 vcc, vcc, exec
	s_branch .LBB0_457
.LBB0_462:                              ;   in Loop: Header=BB0_70 Depth=2
	s_or_b64 exec, exec, s[50:51]
	s_and_saveexec_b64 vcc, s[52:53]
	s_xor_b64 vcc, exec, vcc
	s_cbranch_execz .LBB0_464
; %bb.463:                              ;   in Loop: Header=BB0_70 Depth=2
	v_mov_b32_e32 v1, 1
	ds_write_b32 v0, v1
	s_trap 2
.LBB0_464:                              ;   in Loop: Header=BB0_70 Depth=2
	s_or_b64 exec, exec, s[48:49]
	;;#ASMSTART
	s_wakeup
	;;#ASMEND
.LBB0_465:                              ;   in Loop: Header=BB0_70 Depth=2
	s_or_b64 exec, exec, s[46:47]
.LBB0_466:                              ;   in Loop: Header=BB0_70 Depth=2
	s_andn2_saveexec_b64 vcc, s[44:45]
	s_cbranch_execz .LBB0_468
; %bb.467:                              ;   in Loop: Header=BB0_70 Depth=2
	s_waitcnt vmcnt(0) lgkmcnt(0)
	buffer_wbinvl1_vol
	s_barrier
.LBB0_468:                              ;   in Loop: Header=BB0_70 Depth=2
	s_or_b64 exec, exec, vcc
	s_or_b64 exec, exec, s[20:21]
	s_and_saveexec_b64 s[20:21], s[16:17]
	s_cbranch_execnz .LBB0_75
	s_branch .LBB0_76
.LBB0_469:                              ;   in Loop: Header=BB0_21 Depth=1
	v_accvgpr_write_b32 a43, v1
	v_accvgpr_write_b32 a42, v2
	v_pk_mov_b32 v[16:17], v[28:29], v[28:29] op_sel:[0,1]
	s_branch .LBB0_471
.LBB0_470:                              ;   in Loop: Header=BB0_21 Depth=1
	v_accvgpr_read_b32 v55, a9
	v_pk_mov_b32 v[16:17], v[28:29], v[28:29] op_sel:[0,1]
	v_accvgpr_read_b32 v54, a8
.LBB0_471:                              ;   in Loop: Header=BB0_21 Depth=1
	v_accvgpr_read_b32 v4, a42
	v_accvgpr_read_b32 v5, a43
; %bb.472:                              ;   in Loop: Header=BB0_21 Depth=1
	s_and_saveexec_b64 s[20:21], s[18:19]
	s_cbranch_execz .LBB0_830
; %bb.473:                              ;   in Loop: Header=BB0_21 Depth=1
	v_accvgpr_read_b32 v0, a4
	v_accvgpr_read_b32 v1, a5
	flat_load_dword v8, v[0:1]
	s_waitcnt vmcnt(0) lgkmcnt(0)
	v_accvgpr_read_b32 v2, a10
	v_accvgpr_read_b32 v3, a11
	v_add_co_u32_e32 v2, vcc, v2, v4
	v_addc_co_u32_e32 v3, vcc, v3, v5, vcc
	v_accvgpr_read_b32 v0, a32
	v_add_co_u32_e32 v0, vcc, v0, v4
	v_and_b32_e32 v4, 7, v34
	v_accvgpr_read_b32 v1, a33
	v_mul_lo_u32 v4, v4, s60
	v_addc_co_u32_e32 v1, vcc, v1, v5, vcc
	v_ashrrev_i32_e32 v5, 31, v4
	v_lshlrev_b64 v[4:5], 4, v[4:5]
	v_accvgpr_read_b32 v10, a16
	v_accvgpr_read_b32 v11, a17
	v_add_co_u32_e32 v28, vcc, v10, v4
	v_addc_co_u32_e32 v29, vcc, v11, v5, vcc
	v_accvgpr_read_b32 v5, a23
	v_accvgpr_read_b32 v9, a22
	v_add_u32_e32 v25, 1, v34
	s_mov_b64 s[44:45], 0
	v_mov_b32_e32 v26, v44
	v_ashrrev_i32_e32 v4, 31, v8
	v_mul_lo_u32 v5, v5, v8
	v_mad_u64_u32 v[2:3], s[18:19], v9, v8, v[2:3]
	v_mul_lo_u32 v4, v9, v4
	v_add3_u32 v3, v5, v3, v4
	v_accvgpr_read_b32 v4, a28
	v_add_co_u32_e32 v18, vcc, v2, v4
	v_accvgpr_read_b32 v5, a29
	v_addc_co_u32_e32 v19, vcc, v3, v5, vcc
	s_branch .LBB0_475
.LBB0_474:                              ;   in Loop: Header=BB0_475 Depth=2
	v_add_co_u32_e32 v18, vcc, v18, v56
	v_addc_co_u32_e32 v19, vcc, v19, v45, vcc
	v_add_co_u32_e32 v0, vcc, v0, v56
	v_addc_co_u32_e32 v1, vcc, v1, v45, vcc
	v_sub_u32_e32 v21, v21, v56
	v_cmp_gt_i32_e32 vcc, 1, v21
	s_or_b64 s[44:45], vcc, s[44:45]
	v_add_u32_e32 v26, v26, v20
	s_andn2_b64 exec, exec, s[44:45]
	s_cbranch_execz .LBB0_829
.LBB0_475:                              ;   Parent Loop BB0_21 Depth=1
                                        ; =>  This Loop Header: Depth=2
                                        ;       Child Loop BB0_483 Depth 3
	v_and_b32_e32 v2, -4, v18
	v_mov_b32_e32 v3, v19
	global_load_dword v8, v[2:3], off glc slc
	v_min_u32_e32 v4, 8, v21
	v_and_b32_e32 v5, 3, v18
	v_add_co_u32_e32 v4, vcc, v5, v4
	v_addc_co_u32_e64 v5, s[18:19], 0, 0, vcc
	v_mov_b32_e32 v31, 0
	v_cmp_lt_u64_e32 vcc, 4, v[4:5]
	v_mov_b32_e32 v32, 0
	s_and_saveexec_b64 s[18:19], vcc
	s_cbranch_execz .LBB0_477
; %bb.476:                              ;   in Loop: Header=BB0_475 Depth=2
	global_load_dword v32, v[2:3], off offset:4 glc slc
.LBB0_477:                              ;   in Loop: Header=BB0_475 Depth=2
	s_or_b64 exec, exec, s[18:19]
	v_cmp_lt_u64_e32 vcc, 8, v[4:5]
	s_and_saveexec_b64 s[18:19], vcc
	s_cbranch_execz .LBB0_479
; %bb.478:                              ;   in Loop: Header=BB0_475 Depth=2
	global_load_dword v31, v[2:3], off offset:8 glc slc
.LBB0_479:                              ;   in Loop: Header=BB0_475 Depth=2
	s_or_b64 exec, exec, s[18:19]
	v_ashrrev_i32_e32 v27, 31, v26
	v_lshlrev_b64 v[2:3], 4, v[26:27]
	v_add_co_u32_e32 v10, vcc, v28, v2
	v_addc_co_u32_e32 v11, vcc, v29, v3, vcc
	global_load_dwordx4 v[2:5], v[10:11], off glc slc
	v_cmp_eq_u32_e32 vcc, 0, v7
	s_and_saveexec_b64 s[46:47], vcc
	s_cbranch_execz .LBB0_491
; %bb.480:                              ;   in Loop: Header=BB0_475 Depth=2
	s_waitcnt vmcnt(0)
	v_cmp_ne_u32_e32 vcc, v25, v3
	v_cmp_ne_u32_e64 s[18:19], v25, v5
	s_or_b64 s[18:19], vcc, s[18:19]
	v_mov_b32_e32 v7, 0
	s_and_saveexec_b64 s[48:49], s[18:19]
	s_cbranch_execz .LBB0_490
; %bb.481:                              ;   in Loop: Header=BB0_475 Depth=2
	s_mov_b32 s54, 1
	s_mov_b64 s[50:51], 0
	v_mov_b32_e32 v7, 0
	s_branch .LBB0_483
.LBB0_482:                              ;   in Loop: Header=BB0_483 Depth=3
	s_or_b64 exec, exec, s[52:53]
	s_and_b64 s[18:19], exec, s[18:19]
	s_or_b64 s[50:51], s[18:19], s[50:51]
	s_andn2_b64 exec, exec, s[50:51]
	s_cbranch_execz .LBB0_489
.LBB0_483:                              ;   Parent Loop BB0_21 Depth=1
                                        ;     Parent Loop BB0_475 Depth=2
                                        ; =>    This Inner Loop Header: Depth=3
	global_load_dwordx4 v[2:5], v[10:11], off glc slc
	s_add_i32 s54, s54, 1
	s_cmpk_lg_i32 s54, 0x2710
	s_cbranch_scc1 .LBB0_487
; %bb.484:                              ;   in Loop: Header=BB0_483 Depth=3
	s_trap 2
	ds_read_b64 v[48:49], v0
	s_waitcnt vmcnt(0) lgkmcnt(0)
	flat_load_dword v9, v[48:49] glc
	s_waitcnt vmcnt(0) lgkmcnt(0)
	buffer_invl2
	buffer_wbinvl1_vol
	v_cmp_ne_u32_e32 vcc, 0, v9
	s_and_saveexec_b64 s[18:19], vcc
	s_cbranch_execz .LBB0_486
; %bb.485:                              ;   in Loop: Header=BB0_483 Depth=3
	v_mov_b32_e32 v7, 1
	ds_write_b32 v0, v9
	s_trap 2
.LBB0_486:                              ;   in Loop: Header=BB0_483 Depth=3
	s_or_b64 exec, exec, s[18:19]
	s_mov_b32 s54, 0
	v_mov_b32_e32 v9, v7
	v_cmp_eq_u32_e32 vcc, 0, v9
	s_mov_b64 s[18:19], -1
	s_and_saveexec_b64 s[52:53], vcc
	s_cbranch_execz .LBB0_482
	s_branch .LBB0_488
.LBB0_487:                              ;   in Loop: Header=BB0_483 Depth=3
	v_mov_b32_e32 v9, 0
	v_cmp_eq_u32_e32 vcc, 0, v9
	s_mov_b64 s[18:19], -1
	s_and_saveexec_b64 s[52:53], vcc
	s_cbranch_execz .LBB0_482
.LBB0_488:                              ;   in Loop: Header=BB0_483 Depth=3
	s_waitcnt vmcnt(0)
	v_cmp_eq_u32_e32 vcc, v25, v3
	v_cmp_eq_u32_e64 s[18:19], v25, v5
	s_and_b64 s[18:19], vcc, s[18:19]
	s_orn2_b64 s[18:19], s[18:19], exec
	s_branch .LBB0_482
.LBB0_489:                              ;   in Loop: Header=BB0_475 Depth=2
	s_or_b64 exec, exec, s[50:51]
.LBB0_490:                              ;   in Loop: Header=BB0_475 Depth=2
	s_or_b64 exec, exec, s[48:49]
.LBB0_491:                              ;   in Loop: Header=BB0_475 Depth=2
	s_or_b64 exec, exec, s[46:47]
	s_waitcnt vmcnt(0)
	v_lshlrev_b32_e32 v5, 3, v18
	v_alignbit_b32 v22, v32, v8, v5
	v_cmp_ne_u16_sdwa s[18:19], v2, v23 src0_sel:BYTE_0 src1_sel:DWORD
                                        ; implicit-def: $vgpr9
	s_and_saveexec_b64 vcc, s[14:15]
	s_xor_b64 s[46:47], exec, vcc
	s_cbranch_execz .LBB0_505
; %bb.492:                              ;   in Loop: Header=BB0_475 Depth=2
	v_mov_b32_e32 v9, 0
	v_mov_b32_e32 v8, 0
	s_and_saveexec_b64 s[48:49], s[18:19]
	s_cbranch_execz .LBB0_498
; %bb.493:                              ;   in Loop: Header=BB0_475 Depth=2
	v_cmp_ne_u16_sdwa vcc, v2, s63 src0_sel:BYTE_0 src1_sel:DWORD
	v_bfrev_b32_e32 v8, 1
	s_and_saveexec_b64 s[50:51], vcc
	s_cbranch_execz .LBB0_497
; %bb.494:                              ;   in Loop: Header=BB0_475 Depth=2
	v_and_b32_e32 v10, 0x7f, v2
	v_cmp_ne_u32_e32 vcc, s64, v10
	v_mov_b32_e32 v8, 0x7f800001
	s_and_saveexec_b64 s[52:53], vcc
	s_cbranch_execz .LBB0_496
; %bb.495:                              ;   in Loop: Header=BB0_475 Depth=2
	v_and_b32_e32 v8, 7, v2
	v_ffbh_u32_e32 v8, v8
	v_min_u32_e32 v8, 32, v8
	v_subrev_u32_e32 v24, 28, v8
	v_cmp_gt_u32_e32 vcc, 8, v10
	v_lshrrev_b32_e32 v11, 3, v10
	v_sub_u32_e32 v8, 29, v8
	v_cndmask_b32_e32 v10, 0, v24, vcc
	v_cndmask_b32_e32 v8, v11, v8, vcc
	v_lshlrev_b64 v[10:11], v10, v[2:3]
	v_lshlrev_b32_e32 v10, 20, v10
	v_lshlrev_b32_e32 v11, 24, v2
	v_and_b32_e32 v10, 0x700000, v10
	v_and_b32_e32 v11, 0x80000000, v11
	v_lshl_add_u32 v8, v8, 23, v46
	v_or3_b32 v8, v11, v8, v10
.LBB0_496:                              ;   in Loop: Header=BB0_475 Depth=2
	s_or_b64 exec, exec, s[52:53]
.LBB0_497:                              ;   in Loop: Header=BB0_475 Depth=2
	s_or_b64 exec, exec, s[50:51]
.LBB0_498:                              ;   in Loop: Header=BB0_475 Depth=2
	s_or_b64 exec, exec, s[48:49]
	v_cmp_ne_u16_sdwa vcc, v22, v23 src0_sel:BYTE_0 src1_sel:DWORD
	s_and_saveexec_b64 s[48:49], vcc
	s_cbranch_execz .LBB0_504
; %bb.499:                              ;   in Loop: Header=BB0_475 Depth=2
	v_cmp_ne_u16_sdwa vcc, v22, s63 src0_sel:BYTE_0 src1_sel:DWORD
	v_bfrev_b32_e32 v9, 1
	s_and_saveexec_b64 s[50:51], vcc
	s_cbranch_execz .LBB0_503
; %bb.500:                              ;   in Loop: Header=BB0_475 Depth=2
	v_and_b32_e32 v10, 0x7f, v22
	v_cmp_ne_u32_e32 vcc, s64, v10
	v_mov_b32_e32 v9, 0x7f800001
	s_and_saveexec_b64 s[52:53], vcc
	s_cbranch_execz .LBB0_502
; %bb.501:                              ;   in Loop: Header=BB0_475 Depth=2
	v_and_b32_e32 v9, 7, v22
	v_ffbh_u32_e32 v9, v9
	v_min_u32_e32 v9, 32, v9
	v_subrev_u32_e32 v24, 28, v9
	v_cmp_gt_u32_e32 vcc, 8, v10
	v_lshrrev_b32_e32 v11, 3, v10
	v_sub_u32_e32 v9, 29, v9
	v_cndmask_b32_e32 v10, 0, v24, vcc
	v_cndmask_b32_e32 v9, v11, v9, vcc
	v_lshlrev_b64 v[10:11], v10, v[22:23]
	v_lshlrev_b32_e32 v10, 20, v10
	v_lshlrev_b32_e32 v11, 24, v22
	v_and_b32_e32 v10, 0x700000, v10
	v_and_b32_e32 v11, 0x80000000, v11
	v_lshl_add_u32 v9, v9, 23, v46
	v_or3_b32 v9, v11, v9, v10
.LBB0_502:                              ;   in Loop: Header=BB0_475 Depth=2
	s_or_b64 exec, exec, s[52:53]
.LBB0_503:                              ;   in Loop: Header=BB0_475 Depth=2
	s_or_b64 exec, exec, s[50:51]
.LBB0_504:                              ;   in Loop: Header=BB0_475 Depth=2
	s_or_b64 exec, exec, s[48:49]
	v_max_f32_e32 v9, v9, v9
	v_max_f32_e32 v8, v8, v8
	;; [unrolled: 1-line block ×3, first 2 shown]
.LBB0_505:                              ;   in Loop: Header=BB0_475 Depth=2
	s_andn2_saveexec_b64 s[46:47], s[46:47]
	s_cbranch_execz .LBB0_519
; %bb.506:                              ;   in Loop: Header=BB0_475 Depth=2
	v_mov_b32_e32 v9, 0
	v_mov_b32_e32 v8, 0
	s_and_saveexec_b64 s[48:49], s[18:19]
	s_cbranch_execz .LBB0_512
; %bb.507:                              ;   in Loop: Header=BB0_475 Depth=2
	v_cmp_ne_u16_sdwa vcc, v2, s63 src0_sel:BYTE_0 src1_sel:DWORD
	v_bfrev_b32_e32 v8, 1
	s_and_saveexec_b64 s[18:19], vcc
	s_cbranch_execz .LBB0_511
; %bb.508:                              ;   in Loop: Header=BB0_475 Depth=2
	v_and_b32_e32 v10, 0x7f, v2
	v_cmp_ne_u32_e32 vcc, s64, v10
	v_mov_b32_e32 v8, 0x7f800001
	s_and_saveexec_b64 s[50:51], vcc
	s_cbranch_execz .LBB0_510
; %bb.509:                              ;   in Loop: Header=BB0_475 Depth=2
	v_and_b32_e32 v8, 7, v2
	v_ffbh_u32_e32 v8, v8
	v_min_u32_e32 v8, 32, v8
	v_subrev_u32_e32 v24, 28, v8
	v_cmp_gt_u32_e32 vcc, 8, v10
	v_lshrrev_b32_e32 v11, 3, v10
	v_sub_u32_e32 v8, 29, v8
	v_cndmask_b32_e32 v10, 0, v24, vcc
	v_cndmask_b32_e32 v8, v11, v8, vcc
	v_lshlrev_b64 v[10:11], v10, v[2:3]
	v_lshlrev_b32_e32 v3, 20, v10
	v_lshlrev_b32_e32 v10, 24, v2
	v_and_b32_e32 v3, 0x700000, v3
	v_and_b32_e32 v10, 0x80000000, v10
	v_lshl_add_u32 v8, v8, 23, v46
	v_or3_b32 v8, v10, v8, v3
.LBB0_510:                              ;   in Loop: Header=BB0_475 Depth=2
	s_or_b64 exec, exec, s[50:51]
.LBB0_511:                              ;   in Loop: Header=BB0_475 Depth=2
	s_or_b64 exec, exec, s[18:19]
.LBB0_512:                              ;   in Loop: Header=BB0_475 Depth=2
	s_or_b64 exec, exec, s[48:49]
	v_cmp_ne_u16_sdwa vcc, v22, v23 src0_sel:BYTE_0 src1_sel:DWORD
	s_and_saveexec_b64 s[18:19], vcc
	s_cbranch_execz .LBB0_518
; %bb.513:                              ;   in Loop: Header=BB0_475 Depth=2
	v_cmp_ne_u16_sdwa vcc, v22, s63 src0_sel:BYTE_0 src1_sel:DWORD
	v_bfrev_b32_e32 v9, 1
	s_and_saveexec_b64 s[48:49], vcc
	s_cbranch_execz .LBB0_517
; %bb.514:                              ;   in Loop: Header=BB0_475 Depth=2
	v_and_b32_e32 v3, 0x7f, v22
	v_cmp_ne_u32_e32 vcc, s64, v3
	v_mov_b32_e32 v9, 0x7f800001
	s_and_saveexec_b64 s[50:51], vcc
	s_cbranch_execz .LBB0_516
; %bb.515:                              ;   in Loop: Header=BB0_475 Depth=2
	v_and_b32_e32 v9, 7, v22
	v_ffbh_u32_e32 v9, v9
	v_min_u32_e32 v9, 32, v9
	v_lshrrev_b32_e32 v10, 3, v3
	v_subrev_u32_e32 v11, 28, v9
	v_sub_u32_e32 v9, 29, v9
	v_cmp_gt_u32_e32 vcc, 8, v3
	v_cndmask_b32_e32 v3, v10, v9, vcc
	v_cndmask_b32_e32 v9, 0, v11, vcc
	v_lshlrev_b64 v[10:11], v9, v[22:23]
	v_lshlrev_b32_e32 v9, 20, v10
	v_lshlrev_b32_e32 v10, 24, v22
	v_and_b32_e32 v9, 0x700000, v9
	v_and_b32_e32 v10, 0x80000000, v10
	v_lshl_add_u32 v3, v3, 23, v46
	v_or3_b32 v9, v10, v3, v9
.LBB0_516:                              ;   in Loop: Header=BB0_475 Depth=2
	s_or_b64 exec, exec, s[50:51]
.LBB0_517:                              ;   in Loop: Header=BB0_475 Depth=2
	s_or_b64 exec, exec, s[48:49]
.LBB0_518:                              ;   in Loop: Header=BB0_475 Depth=2
	s_or_b64 exec, exec, s[18:19]
	v_max_f32_e32 v3, v9, v9
	v_max_f32_e32 v8, v8, v8
	v_min_f32_e32 v9, v8, v3
.LBB0_519:                              ;   in Loop: Header=BB0_475 Depth=2
	s_or_b64 exec, exec, s[46:47]
	v_and_b32_sdwa v3, v9, s63 dst_sel:DWORD dst_unused:UNUSED_PAD src0_sel:BYTE_3 src1_sel:DWORD
	v_and_b32_e32 v48, 0x7f800000, v9
	v_mov_b32_e32 v49, v23
	v_and_b32_e32 v10, 0x7fffff, v9
	v_mov_b32_e32 v11, v23
	v_or_b32_e32 v8, 0x7e, v3
	v_cmp_ne_u64_e32 vcc, s[38:39], v[48:49]
	s_and_saveexec_b64 s[18:19], vcc
	s_xor_b64 s[46:47], exec, s[18:19]
	s_cbranch_execz .LBB0_529
; %bb.520:                              ;   in Loop: Header=BB0_475 Depth=2
	v_and_b32_e32 v48, 0x7fffffff, v9
	v_mov_b32_e32 v49, v23
	v_cmp_gt_u64_e32 vcc, s[40:41], v[48:49]
	s_and_saveexec_b64 s[48:49], vcc
	s_cbranch_execz .LBB0_528
; %bb.521:                              ;   in Loop: Header=BB0_475 Depth=2
	v_cmp_ne_u32_e32 vcc, 0, v9
	v_mov_b32_e32 v8, 0
	s_and_saveexec_b64 s[50:51], vcc
	s_cbranch_execz .LBB0_527
; %bb.522:                              ;   in Loop: Header=BB0_475 Depth=2
	v_bfe_u32 v8, v9, 23, 8
	v_sub_u32_e32 v24, 0x79, v8
	v_cmp_gt_u32_e32 vcc, s65, v8
	v_cndmask_b32_e32 v24, 0, v24, vcc
	v_cmp_eq_u32_e32 vcc, 0, v8
	v_cndmask_b32_e32 v24, v24, v30, vcc
	v_add_u32_e32 v9, 0xffffff81, v8
	v_add_u32_e32 v8, 20, v24
	v_or_b32_e32 v27, 0x800000, v10
	v_cndmask_b32_e32 v33, v9, v47, vcc
	v_lshlrev_b64 v[8:9], v8, -1
	v_cndmask_b32_e32 v10, v27, v10, vcc
	v_not_b32_e32 v8, v8
	v_and_b32_e32 v48, v10, v8
	v_add_u32_e32 v8, 19, v24
	v_lshrrev_b64 v[10:11], v24, v[10:11]
	v_not_b32_e32 v9, v9
	v_lshlrev_b64 v[54:55], v8, 1
	v_lshrrev_b32_e32 v8, 23, v10
	v_and_b32_e32 v49, 0, v9
	v_add3_u32 v24, v24, v33, v8
	v_bfe_u32 v8, v10, 20, 1
	v_add_u32_e32 v8, -1, v8
	v_cmp_eq_u64_e32 vcc, v[48:49], v[54:55]
	v_cndmask_b32_e32 v8, 0, v8, vcc
	v_add_u32_e32 v8, v8, v10
	v_and_b32_e32 v8, 0xfffff, v8
	v_add_co_u32_e32 v10, vcc, v8, v10
	v_add_u32_e32 v9, 6, v24
	v_addc_co_u32_e32 v11, vcc, 0, v11, vcc
	v_cmp_ne_u32_e32 vcc, 0, v9
                                        ; implicit-def: $vgpr8
	s_and_saveexec_b64 s[18:19], vcc
	s_xor_b64 s[18:19], exec, s[18:19]
; %bb.523:                              ;   in Loop: Header=BB0_475 Depth=2
	v_add_u32_e32 v8, 7, v24
	v_cmp_lt_u64_e32 vcc, s[42:43], v[10:11]
	v_cndmask_b32_e32 v8, v9, v8, vcc
	v_cndmask_b32_e64 v9, 0, 1, vcc
	v_lshrrev_b64 v[10:11], v9, v[10:11]
; %bb.524:                              ;   in Loop: Header=BB0_475 Depth=2
	s_andn2_saveexec_b64 s[18:19], s[18:19]
; %bb.525:                              ;   in Loop: Header=BB0_475 Depth=2
	v_bfe_u32 v8, v10, 23, 1
; %bb.526:                              ;   in Loop: Header=BB0_475 Depth=2
	s_or_b64 exec, exec, s[18:19]
	v_lshrrev_b64 v[10:11], 20, v[10:11]
	v_cmp_gt_i32_e32 vcc, 16, v8
	v_cndmask_b32_e32 v11, 0, v11, vcc
	v_cndmask_b32_e32 v10, 7, v10, vcc
	v_cmp_eq_u32_e32 vcc, 0, v8
	v_min_i32_e32 v8, 15, v8
	v_cmp_eq_u64_e64 s[18:19], 0, v[10:11]
	v_lshlrev_b32_e32 v8, 3, v8
	v_and_or_b32 v8, v10, 7, v8
	s_and_b64 s[18:19], vcc, s[18:19]
	v_cndmask_b32_e64 v8, v8, 0, s[18:19]
	v_accvgpr_read_b32 v55, a9
	v_or_b32_e32 v8, v8, v3
	v_accvgpr_read_b32 v54, a8
.LBB0_527:                              ;   in Loop: Header=BB0_475 Depth=2
	s_or_b64 exec, exec, s[50:51]
.LBB0_528:                              ;   in Loop: Header=BB0_475 Depth=2
	s_or_b64 exec, exec, s[48:49]
                                        ; implicit-def: $vgpr9
                                        ; implicit-def: $vgpr10_vgpr11
.LBB0_529:                              ;   in Loop: Header=BB0_475 Depth=2
	s_andn2_saveexec_b64 s[18:19], s[46:47]
; %bb.530:                              ;   in Loop: Header=BB0_475 Depth=2
	v_or_b32_sdwa v3, v9, s64 dst_sel:DWORD dst_unused:UNUSED_PAD src0_sel:BYTE_3 src1_sel:DWORD
	v_cmp_eq_u64_e32 vcc, 0, v[10:11]
	v_cndmask_b32_e32 v8, v3, v8, vcc
; %bb.531:                              ;   in Loop: Header=BB0_475 Depth=2
	s_or_b64 exec, exec, s[18:19]
	v_lshrrev_b16_e32 v24, 8, v2
	v_lshrrev_b16_e32 v10, 8, v22
	v_cmp_ne_u16_e32 vcc, 0, v24
                                        ; implicit-def: $vgpr27
	s_and_saveexec_b64 s[18:19], s[14:15]
	s_xor_b64 s[46:47], exec, s[18:19]
	s_cbranch_execz .LBB0_545
; %bb.532:                              ;   in Loop: Header=BB0_475 Depth=2
	v_mov_b32_e32 v9, 0
	v_mov_b32_e32 v3, 0
	s_and_saveexec_b64 s[48:49], vcc
	s_cbranch_execz .LBB0_538
; %bb.533:                              ;   in Loop: Header=BB0_475 Depth=2
	v_cmp_ne_u16_e64 s[18:19], s63, v24
	v_bfrev_b32_e32 v3, 1
	s_and_saveexec_b64 s[50:51], s[18:19]
	s_cbranch_execz .LBB0_537
; %bb.534:                              ;   in Loop: Header=BB0_475 Depth=2
	v_and_b32_e32 v11, 0x7f, v24
	v_cmp_ne_u32_e64 s[18:19], s64, v11
	v_mov_b32_e32 v3, 0x7f800001
	s_and_saveexec_b64 s[52:53], s[18:19]
	s_cbranch_execz .LBB0_536
; %bb.535:                              ;   in Loop: Header=BB0_475 Depth=2
	v_and_b32_e32 v3, 7, v24
	v_ffbh_u32_e32 v33, v3
	v_min_u32_e32 v33, 32, v33
	v_subrev_u32_e32 v36, 28, v33
	v_lshlrev_b64 v[48:49], v36, v[24:25]
	v_lshrrev_b32_e32 v27, 3, v11
	v_sub_u32_e32 v24, 29, v33
	v_and_b32_e32 v33, 7, v48
	v_cmp_gt_u32_e64 s[18:19], 8, v11
	v_cndmask_b32_e64 v11, v27, v24, s[18:19]
	v_cndmask_b32_e64 v3, v3, v33, s[18:19]
	v_lshlrev_b32_e32 v24, 16, v2
	v_lshlrev_b32_e32 v3, 20, v3
	v_and_b32_e32 v24, 0x80000000, v24
	v_lshl_add_u32 v11, v11, 23, v46
	v_or3_b32 v3, v24, v11, v3
.LBB0_536:                              ;   in Loop: Header=BB0_475 Depth=2
	s_or_b64 exec, exec, s[52:53]
.LBB0_537:                              ;   in Loop: Header=BB0_475 Depth=2
	s_or_b64 exec, exec, s[50:51]
.LBB0_538:                              ;   in Loop: Header=BB0_475 Depth=2
	s_or_b64 exec, exec, s[48:49]
	v_cmp_ne_u16_e64 s[18:19], 0, v10
	s_and_saveexec_b64 s[48:49], s[18:19]
	s_cbranch_execz .LBB0_544
; %bb.539:                              ;   in Loop: Header=BB0_475 Depth=2
	v_cmp_ne_u16_e64 s[18:19], s63, v10
	v_bfrev_b32_e32 v9, 1
	s_and_saveexec_b64 s[50:51], s[18:19]
	s_cbranch_execz .LBB0_543
; %bb.540:                              ;   in Loop: Header=BB0_475 Depth=2
	v_and_b32_e32 v11, 0x7f, v10
	v_cmp_ne_u32_e64 s[18:19], s64, v11
	v_mov_b32_e32 v9, 0x7f800001
	s_and_saveexec_b64 s[52:53], s[18:19]
	s_cbranch_execz .LBB0_542
; %bb.541:                              ;   in Loop: Header=BB0_475 Depth=2
	v_and_b32_e32 v9, 7, v10
	v_ffbh_u32_e32 v27, v9
	v_min_u32_e32 v27, 32, v27
	v_subrev_u32_e32 v33, 28, v27
	v_lshlrev_b64 v[48:49], v33, v[10:11]
	v_lshrrev_b32_e32 v24, 3, v11
	v_sub_u32_e32 v10, 29, v27
	v_and_b32_e32 v27, 7, v48
	v_cmp_gt_u32_e64 s[18:19], 8, v11
	v_cndmask_b32_e64 v10, v24, v10, s[18:19]
	v_cndmask_b32_e64 v9, v9, v27, s[18:19]
	v_lshlrev_b32_e32 v11, 16, v22
	v_lshlrev_b32_e32 v9, 20, v9
	v_and_b32_e32 v11, 0x80000000, v11
	v_lshl_add_u32 v10, v10, 23, v46
	v_or3_b32 v9, v11, v10, v9
.LBB0_542:                              ;   in Loop: Header=BB0_475 Depth=2
	s_or_b64 exec, exec, s[52:53]
.LBB0_543:                              ;   in Loop: Header=BB0_475 Depth=2
	s_or_b64 exec, exec, s[50:51]
.LBB0_544:                              ;   in Loop: Header=BB0_475 Depth=2
	s_or_b64 exec, exec, s[48:49]
	v_max_f32_e32 v9, v9, v9
	v_max_f32_e32 v3, v3, v3
	;; [unrolled: 1-line block ×3, first 2 shown]
                                        ; implicit-def: $vgpr10
                                        ; implicit-def: $vgpr24
.LBB0_545:                              ;   in Loop: Header=BB0_475 Depth=2
	s_andn2_saveexec_b64 s[18:19], s[46:47]
	s_cbranch_execz .LBB0_559
; %bb.546:                              ;   in Loop: Header=BB0_475 Depth=2
	v_mov_b32_e32 v9, 0
	v_mov_b32_e32 v3, 0
	s_and_saveexec_b64 s[46:47], vcc
	s_cbranch_execz .LBB0_552
; %bb.547:                              ;   in Loop: Header=BB0_475 Depth=2
	v_cmp_ne_u16_e32 vcc, s63, v24
	v_bfrev_b32_e32 v3, 1
	s_and_saveexec_b64 s[48:49], vcc
	s_cbranch_execz .LBB0_551
; %bb.548:                              ;   in Loop: Header=BB0_475 Depth=2
	v_and_b32_e32 v11, 0x7f, v24
	v_cmp_ne_u32_e32 vcc, s64, v11
	v_mov_b32_e32 v3, 0x7f800001
	s_and_saveexec_b64 s[50:51], vcc
	s_cbranch_execz .LBB0_550
; %bb.549:                              ;   in Loop: Header=BB0_475 Depth=2
	v_and_b32_e32 v3, 7, v24
	v_ffbh_u32_e32 v33, v3
	v_min_u32_e32 v33, 32, v33
	v_subrev_u32_e32 v36, 28, v33
	v_lshlrev_b64 v[48:49], v36, v[24:25]
	v_lshrrev_b32_e32 v27, 3, v11
	v_sub_u32_e32 v24, 29, v33
	v_and_b32_e32 v33, 7, v48
	v_cmp_gt_u32_e32 vcc, 8, v11
	v_cndmask_b32_e32 v11, v27, v24, vcc
	v_cndmask_b32_e32 v3, v3, v33, vcc
	v_lshlrev_b32_e32 v24, 16, v2
	v_lshlrev_b32_e32 v3, 20, v3
	v_and_b32_e32 v24, 0x80000000, v24
	v_lshl_add_u32 v11, v11, 23, v46
	v_or3_b32 v3, v24, v11, v3
.LBB0_550:                              ;   in Loop: Header=BB0_475 Depth=2
	s_or_b64 exec, exec, s[50:51]
.LBB0_551:                              ;   in Loop: Header=BB0_475 Depth=2
	s_or_b64 exec, exec, s[48:49]
.LBB0_552:                              ;   in Loop: Header=BB0_475 Depth=2
	s_or_b64 exec, exec, s[46:47]
	v_cmp_ne_u16_e32 vcc, 0, v10
	s_and_saveexec_b64 s[46:47], vcc
	s_cbranch_execz .LBB0_558
; %bb.553:                              ;   in Loop: Header=BB0_475 Depth=2
	v_cmp_ne_u16_e32 vcc, s63, v10
	v_bfrev_b32_e32 v9, 1
	s_and_saveexec_b64 s[48:49], vcc
	s_cbranch_execz .LBB0_557
; %bb.554:                              ;   in Loop: Header=BB0_475 Depth=2
	v_and_b32_e32 v11, 0x7f, v10
	v_cmp_ne_u32_e32 vcc, s64, v11
	v_mov_b32_e32 v9, 0x7f800001
	s_and_saveexec_b64 s[50:51], vcc
	s_cbranch_execz .LBB0_556
; %bb.555:                              ;   in Loop: Header=BB0_475 Depth=2
	v_and_b32_e32 v9, 7, v10
	v_ffbh_u32_e32 v27, v9
	v_min_u32_e32 v27, 32, v27
	v_subrev_u32_e32 v33, 28, v27
	v_lshlrev_b64 v[48:49], v33, v[10:11]
	v_lshrrev_b32_e32 v24, 3, v11
	v_sub_u32_e32 v10, 29, v27
	v_and_b32_e32 v27, 7, v48
	v_cmp_gt_u32_e32 vcc, 8, v11
	v_cndmask_b32_e32 v10, v24, v10, vcc
	v_cndmask_b32_e32 v9, v9, v27, vcc
	v_lshlrev_b32_e32 v11, 16, v22
	v_lshlrev_b32_e32 v9, 20, v9
	v_and_b32_e32 v11, 0x80000000, v11
	v_lshl_add_u32 v10, v10, 23, v46
	v_or3_b32 v9, v11, v10, v9
.LBB0_556:                              ;   in Loop: Header=BB0_475 Depth=2
	s_or_b64 exec, exec, s[50:51]
.LBB0_557:                              ;   in Loop: Header=BB0_475 Depth=2
	s_or_b64 exec, exec, s[48:49]
.LBB0_558:                              ;   in Loop: Header=BB0_475 Depth=2
	s_or_b64 exec, exec, s[46:47]
	v_max_f32_e32 v9, v9, v9
	v_max_f32_e32 v3, v3, v3
	v_min_f32_e32 v27, v3, v9
.LBB0_559:                              ;   in Loop: Header=BB0_475 Depth=2
	s_or_b64 exec, exec, s[18:19]
	v_and_b32_sdwa v3, v27, s63 dst_sel:DWORD dst_unused:UNUSED_PAD src0_sel:BYTE_3 src1_sel:DWORD
	v_and_b32_e32 v48, 0x7f800000, v27
	v_mov_b32_e32 v49, v23
	v_and_b32_e32 v10, 0x7fffff, v27
	v_mov_b32_e32 v11, v23
	v_or_b32_e32 v9, 0x7e, v3
	v_cmp_ne_u64_e32 vcc, s[38:39], v[48:49]
	s_and_saveexec_b64 s[18:19], vcc
	s_xor_b64 s[46:47], exec, s[18:19]
	s_cbranch_execz .LBB0_569
; %bb.560:                              ;   in Loop: Header=BB0_475 Depth=2
	v_and_b32_e32 v48, 0x7fffffff, v27
	v_mov_b32_e32 v49, v23
	v_cmp_gt_u64_e32 vcc, s[40:41], v[48:49]
	s_and_saveexec_b64 s[48:49], vcc
	s_cbranch_execz .LBB0_568
; %bb.561:                              ;   in Loop: Header=BB0_475 Depth=2
	v_cmp_ne_u32_e32 vcc, 0, v27
	v_mov_b32_e32 v9, 0
	s_and_saveexec_b64 s[50:51], vcc
	s_cbranch_execz .LBB0_567
; %bb.562:                              ;   in Loop: Header=BB0_475 Depth=2
	v_bfe_u32 v9, v27, 23, 8
	v_cmp_eq_u32_e32 vcc, 0, v9
	v_add_u32_e32 v24, 0xffffff81, v9
	v_cmp_gt_u32_e64 s[18:19], s65, v9
	v_sub_u32_e32 v9, 0x79, v9
	v_cndmask_b32_e64 v9, 0, v9, s[18:19]
	v_or_b32_e32 v27, 0x800000, v10
	v_cndmask_b32_e32 v9, v9, v30, vcc
	v_cndmask_b32_e32 v10, v27, v10, vcc
	v_add_u32_e32 v27, 20, v9
	v_lshlrev_b64 v[48:49], v27, -1
	v_not_b32_e32 v27, v49
	v_not_b32_e32 v33, v48
	v_and_b32_e32 v49, 0, v27
	v_and_b32_e32 v48, v10, v33
	v_add_u32_e32 v27, 19, v9
	v_lshrrev_b64 v[10:11], v9, v[10:11]
	v_cndmask_b32_e32 v24, v24, v47, vcc
	v_lshlrev_b64 v[54:55], v27, 1
	v_lshrrev_b32_e32 v27, 23, v10
	v_add3_u32 v27, v9, v24, v27
	v_bfe_u32 v9, v10, 20, 1
	v_cmp_eq_u64_e32 vcc, v[48:49], v[54:55]
	v_add_u32_e32 v9, -1, v9
	v_cndmask_b32_e32 v9, 0, v9, vcc
	v_add_u32_e32 v9, v9, v10
	v_and_b32_e32 v9, 0xfffff, v9
	v_add_co_u32_e32 v10, vcc, v9, v10
	v_add_u32_e32 v24, 6, v27
	v_addc_co_u32_e32 v11, vcc, 0, v11, vcc
	v_cmp_ne_u32_e32 vcc, 0, v24
                                        ; implicit-def: $vgpr9
	s_and_saveexec_b64 s[18:19], vcc
	s_xor_b64 s[18:19], exec, s[18:19]
; %bb.563:                              ;   in Loop: Header=BB0_475 Depth=2
	v_add_u32_e32 v9, 7, v27
	v_cmp_lt_u64_e32 vcc, s[42:43], v[10:11]
	v_cndmask_b32_e32 v9, v24, v9, vcc
	v_cndmask_b32_e64 v24, 0, 1, vcc
	v_lshrrev_b64 v[10:11], v24, v[10:11]
; %bb.564:                              ;   in Loop: Header=BB0_475 Depth=2
	s_andn2_saveexec_b64 s[18:19], s[18:19]
; %bb.565:                              ;   in Loop: Header=BB0_475 Depth=2
	v_bfe_u32 v9, v10, 23, 1
; %bb.566:                              ;   in Loop: Header=BB0_475 Depth=2
	s_or_b64 exec, exec, s[18:19]
	v_lshrrev_b64 v[10:11], 20, v[10:11]
	v_cmp_gt_i32_e32 vcc, 16, v9
	v_cndmask_b32_e32 v11, 0, v11, vcc
	v_cndmask_b32_e32 v10, 7, v10, vcc
	v_cmp_eq_u32_e32 vcc, 0, v9
	v_min_i32_e32 v9, 15, v9
	v_cmp_eq_u64_e64 s[18:19], 0, v[10:11]
	v_lshlrev_b32_e32 v9, 3, v9
	v_and_or_b32 v9, v10, 7, v9
	s_and_b64 s[18:19], vcc, s[18:19]
	v_cndmask_b32_e64 v9, v9, 0, s[18:19]
	v_accvgpr_read_b32 v55, a9
	v_or_b32_e32 v9, v9, v3
	v_accvgpr_read_b32 v54, a8
.LBB0_567:                              ;   in Loop: Header=BB0_475 Depth=2
	s_or_b64 exec, exec, s[50:51]
.LBB0_568:                              ;   in Loop: Header=BB0_475 Depth=2
	s_or_b64 exec, exec, s[48:49]
                                        ; implicit-def: $vgpr27
                                        ; implicit-def: $vgpr10_vgpr11
.LBB0_569:                              ;   in Loop: Header=BB0_475 Depth=2
	s_andn2_saveexec_b64 s[18:19], s[46:47]
; %bb.570:                              ;   in Loop: Header=BB0_475 Depth=2
	v_or_b32_sdwa v3, v27, s64 dst_sel:DWORD dst_unused:UNUSED_PAD src0_sel:BYTE_3 src1_sel:DWORD
	v_cmp_eq_u64_e32 vcc, 0, v[10:11]
	v_cndmask_b32_e32 v9, v3, v9, vcc
; %bb.571:                              ;   in Loop: Header=BB0_475 Depth=2
	s_or_b64 exec, exec, s[18:19]
	v_lshrrev_b32_e32 v24, 16, v2
	v_lshrrev_b32_e32 v10, 16, v22
	v_cmp_ne_u16_sdwa s[18:19], v24, v23 src0_sel:BYTE_0 src1_sel:DWORD
                                        ; implicit-def: $vgpr33
	s_and_saveexec_b64 vcc, s[14:15]
	s_xor_b64 s[46:47], exec, vcc
	s_cbranch_execz .LBB0_585
; %bb.572:                              ;   in Loop: Header=BB0_475 Depth=2
	v_mov_b32_e32 v3, 0
	v_mov_b32_e32 v11, 0
	s_and_saveexec_b64 s[48:49], s[18:19]
	s_cbranch_execz .LBB0_578
; %bb.573:                              ;   in Loop: Header=BB0_475 Depth=2
	v_cmp_ne_u16_sdwa vcc, v24, s63 src0_sel:BYTE_0 src1_sel:DWORD
	v_bfrev_b32_e32 v11, 1
	s_and_saveexec_b64 s[50:51], vcc
	s_cbranch_execz .LBB0_577
; %bb.574:                              ;   in Loop: Header=BB0_475 Depth=2
	v_bfe_u32 v27, v2, 16, 7
	v_cmp_ne_u32_e32 vcc, s64, v27
	v_mov_b32_e32 v11, 0x7f800001
	s_and_saveexec_b64 s[52:53], vcc
	s_cbranch_execz .LBB0_576
; %bb.575:                              ;   in Loop: Header=BB0_475 Depth=2
	v_and_b32_e32 v11, 7, v24
	v_lshrrev_b32_e32 v33, 3, v27
	v_cmp_gt_u32_e32 vcc, 8, v27
	v_ffbh_u32_e32 v27, v11
	v_min_u32_e32 v27, 32, v27
	v_subrev_u32_e32 v36, 28, v27
	v_lshlrev_b64 v[48:49], v36, v[24:25]
	v_sub_u32_e32 v27, 29, v27
	v_and_b32_e32 v36, 7, v48
	v_cndmask_b32_e32 v27, v33, v27, vcc
	v_cndmask_b32_e32 v11, v11, v36, vcc
	v_lshlrev_b32_e32 v24, 24, v24
	v_lshlrev_b32_e32 v11, 20, v11
	v_and_b32_e32 v24, 0x80000000, v24
	v_lshl_add_u32 v27, v27, 23, v46
	v_or3_b32 v11, v24, v27, v11
.LBB0_576:                              ;   in Loop: Header=BB0_475 Depth=2
	s_or_b64 exec, exec, s[52:53]
.LBB0_577:                              ;   in Loop: Header=BB0_475 Depth=2
	s_or_b64 exec, exec, s[50:51]
.LBB0_578:                              ;   in Loop: Header=BB0_475 Depth=2
	s_or_b64 exec, exec, s[48:49]
	v_and_b32_sdwa v24, v22, s62 dst_sel:DWORD dst_unused:UNUSED_PAD src0_sel:WORD_1 src1_sel:DWORD
	v_cmp_ne_u16_e32 vcc, 0, v24
	s_and_saveexec_b64 s[48:49], vcc
	s_cbranch_execz .LBB0_584
; %bb.579:                              ;   in Loop: Header=BB0_475 Depth=2
	v_cmp_ne_u16_e32 vcc, s63, v24
	v_bfrev_b32_e32 v3, 1
	s_and_saveexec_b64 s[50:51], vcc
	s_cbranch_execz .LBB0_583
; %bb.580:                              ;   in Loop: Header=BB0_475 Depth=2
	v_bfe_u32 v24, v22, 16, 7
	v_cmp_ne_u32_e32 vcc, s64, v24
	v_mov_b32_e32 v3, 0x7f800001
	s_and_saveexec_b64 s[52:53], vcc
	s_cbranch_execz .LBB0_582
; %bb.581:                              ;   in Loop: Header=BB0_475 Depth=2
	v_and_b32_e32 v3, 7, v10
	v_ffbh_u32_e32 v33, v3
	v_min_u32_e32 v33, 32, v33
	v_subrev_u32_e32 v36, 28, v33
	v_lshlrev_b64 v[48:49], v36, v[10:11]
	v_lshrrev_b32_e32 v27, 3, v24
	v_sub_u32_e32 v10, 29, v33
	v_and_b32_e32 v33, 7, v48
	v_cmp_gt_u32_e32 vcc, 8, v24
	v_cndmask_b32_e32 v10, v27, v10, vcc
	v_cndmask_b32_e32 v3, v3, v33, vcc
	v_lshlrev_b32_sdwa v24, v6, v22 dst_sel:DWORD dst_unused:UNUSED_PAD src0_sel:DWORD src1_sel:WORD_1
	v_lshlrev_b32_e32 v3, 20, v3
	v_and_b32_e32 v24, 0x80000000, v24
	v_lshl_add_u32 v10, v10, 23, v46
	v_or3_b32 v3, v24, v10, v3
.LBB0_582:                              ;   in Loop: Header=BB0_475 Depth=2
	s_or_b64 exec, exec, s[52:53]
.LBB0_583:                              ;   in Loop: Header=BB0_475 Depth=2
	s_or_b64 exec, exec, s[50:51]
.LBB0_584:                              ;   in Loop: Header=BB0_475 Depth=2
	s_or_b64 exec, exec, s[48:49]
	v_max_f32_e32 v3, v3, v3
	v_max_f32_e32 v10, v11, v11
	;; [unrolled: 1-line block ×3, first 2 shown]
                                        ; implicit-def: $vgpr24
                                        ; implicit-def: $vgpr10
.LBB0_585:                              ;   in Loop: Header=BB0_475 Depth=2
	s_andn2_saveexec_b64 s[46:47], s[46:47]
	s_cbranch_execz .LBB0_599
; %bb.586:                              ;   in Loop: Header=BB0_475 Depth=2
	v_mov_b32_e32 v3, 0
	v_mov_b32_e32 v11, 0
	s_and_saveexec_b64 s[48:49], s[18:19]
	s_cbranch_execz .LBB0_592
; %bb.587:                              ;   in Loop: Header=BB0_475 Depth=2
	v_cmp_ne_u16_sdwa vcc, v24, s63 src0_sel:BYTE_0 src1_sel:DWORD
	v_bfrev_b32_e32 v11, 1
	s_and_saveexec_b64 s[18:19], vcc
	s_cbranch_execz .LBB0_591
; %bb.588:                              ;   in Loop: Header=BB0_475 Depth=2
	v_bfe_u32 v27, v2, 16, 7
	v_cmp_ne_u32_e32 vcc, s64, v27
	v_mov_b32_e32 v11, 0x7f800001
	s_and_saveexec_b64 s[50:51], vcc
	s_cbranch_execz .LBB0_590
; %bb.589:                              ;   in Loop: Header=BB0_475 Depth=2
	v_and_b32_e32 v11, 7, v24
	v_lshrrev_b32_e32 v33, 3, v27
	v_cmp_gt_u32_e32 vcc, 8, v27
	v_ffbh_u32_e32 v27, v11
	v_min_u32_e32 v27, 32, v27
	v_subrev_u32_e32 v36, 28, v27
	v_lshlrev_b64 v[48:49], v36, v[24:25]
	v_sub_u32_e32 v27, 29, v27
	v_and_b32_e32 v36, 7, v48
	v_cndmask_b32_e32 v27, v33, v27, vcc
	v_cndmask_b32_e32 v11, v11, v36, vcc
	v_lshlrev_b32_e32 v24, 24, v24
	v_lshlrev_b32_e32 v11, 20, v11
	v_and_b32_e32 v24, 0x80000000, v24
	v_lshl_add_u32 v27, v27, 23, v46
	v_or3_b32 v11, v24, v27, v11
.LBB0_590:                              ;   in Loop: Header=BB0_475 Depth=2
	s_or_b64 exec, exec, s[50:51]
.LBB0_591:                              ;   in Loop: Header=BB0_475 Depth=2
	s_or_b64 exec, exec, s[18:19]
.LBB0_592:                              ;   in Loop: Header=BB0_475 Depth=2
	s_or_b64 exec, exec, s[48:49]
	v_and_b32_sdwa v24, v22, s62 dst_sel:DWORD dst_unused:UNUSED_PAD src0_sel:WORD_1 src1_sel:DWORD
	v_cmp_ne_u16_e32 vcc, 0, v24
	s_and_saveexec_b64 s[18:19], vcc
	s_cbranch_execz .LBB0_598
; %bb.593:                              ;   in Loop: Header=BB0_475 Depth=2
	v_cmp_ne_u16_e32 vcc, s63, v24
	v_bfrev_b32_e32 v3, 1
	s_and_saveexec_b64 s[48:49], vcc
	s_cbranch_execz .LBB0_597
; %bb.594:                              ;   in Loop: Header=BB0_475 Depth=2
	v_bfe_u32 v24, v22, 16, 7
	v_cmp_ne_u32_e32 vcc, s64, v24
	v_mov_b32_e32 v3, 0x7f800001
	s_and_saveexec_b64 s[50:51], vcc
	s_cbranch_execz .LBB0_596
; %bb.595:                              ;   in Loop: Header=BB0_475 Depth=2
	v_and_b32_e32 v3, 7, v10
	v_ffbh_u32_e32 v33, v3
	v_min_u32_e32 v33, 32, v33
	v_subrev_u32_e32 v36, 28, v33
	v_lshlrev_b64 v[48:49], v36, v[10:11]
	v_lshrrev_b32_e32 v27, 3, v24
	v_sub_u32_e32 v10, 29, v33
	v_and_b32_e32 v33, 7, v48
	v_cmp_gt_u32_e32 vcc, 8, v24
	v_cndmask_b32_e32 v10, v27, v10, vcc
	v_cndmask_b32_e32 v3, v3, v33, vcc
	v_lshlrev_b32_sdwa v24, v6, v22 dst_sel:DWORD dst_unused:UNUSED_PAD src0_sel:DWORD src1_sel:WORD_1
	v_lshlrev_b32_e32 v3, 20, v3
	v_and_b32_e32 v24, 0x80000000, v24
	v_lshl_add_u32 v10, v10, 23, v46
	v_or3_b32 v3, v24, v10, v3
.LBB0_596:                              ;   in Loop: Header=BB0_475 Depth=2
	s_or_b64 exec, exec, s[50:51]
.LBB0_597:                              ;   in Loop: Header=BB0_475 Depth=2
	s_or_b64 exec, exec, s[48:49]
.LBB0_598:                              ;   in Loop: Header=BB0_475 Depth=2
	s_or_b64 exec, exec, s[18:19]
	v_max_f32_e32 v3, v3, v3
	v_max_f32_e32 v10, v11, v11
	v_min_f32_e32 v33, v10, v3
.LBB0_599:                              ;   in Loop: Header=BB0_475 Depth=2
	s_or_b64 exec, exec, s[46:47]
	v_and_b32_sdwa v3, v33, s63 dst_sel:DWORD dst_unused:UNUSED_PAD src0_sel:BYTE_3 src1_sel:DWORD
	v_and_b32_e32 v48, 0x7f800000, v33
	v_mov_b32_e32 v49, v23
	v_and_b32_e32 v10, 0x7fffff, v33
	v_mov_b32_e32 v11, v23
	v_or_b32_e32 v27, 0x7e, v3
	v_cmp_ne_u64_e32 vcc, s[38:39], v[48:49]
	s_and_saveexec_b64 s[18:19], vcc
	s_xor_b64 s[46:47], exec, s[18:19]
	s_cbranch_execz .LBB0_609
; %bb.600:                              ;   in Loop: Header=BB0_475 Depth=2
	v_and_b32_e32 v48, 0x7fffffff, v33
	v_mov_b32_e32 v49, v23
	v_cmp_gt_u64_e32 vcc, s[40:41], v[48:49]
	s_and_saveexec_b64 s[48:49], vcc
	s_cbranch_execz .LBB0_608
; %bb.601:                              ;   in Loop: Header=BB0_475 Depth=2
	v_cmp_ne_u32_e32 vcc, 0, v33
	v_mov_b32_e32 v27, 0
	s_and_saveexec_b64 s[50:51], vcc
	s_cbranch_execz .LBB0_607
; %bb.602:                              ;   in Loop: Header=BB0_475 Depth=2
	v_bfe_u32 v24, v33, 23, 8
	v_sub_u32_e32 v33, 0x79, v24
	v_cmp_gt_u32_e32 vcc, s65, v24
	v_add_u32_e32 v27, 0xffffff81, v24
	v_cndmask_b32_e32 v33, 0, v33, vcc
	v_cmp_eq_u32_e32 vcc, 0, v24
	v_cndmask_b32_e32 v24, v27, v47, vcc
	v_cndmask_b32_e32 v27, v33, v30, vcc
	v_add_u32_e32 v33, 20, v27
	v_or_b32_e32 v36, 0x800000, v10
	v_lshlrev_b64 v[48:49], v33, -1
	v_cndmask_b32_e32 v10, v36, v10, vcc
	v_not_b32_e32 v33, v49
	v_not_b32_e32 v36, v48
	v_and_b32_e32 v49, 0, v33
	v_and_b32_e32 v48, v10, v36
	v_add_u32_e32 v33, 19, v27
	v_lshrrev_b64 v[10:11], v27, v[10:11]
	v_lshlrev_b64 v[54:55], v33, 1
	v_lshrrev_b32_e32 v33, 23, v10
	v_add3_u32 v33, v27, v24, v33
	v_bfe_u32 v24, v10, 20, 1
	v_add_u32_e32 v24, -1, v24
	v_cmp_eq_u64_e32 vcc, v[48:49], v[54:55]
	v_cndmask_b32_e32 v24, 0, v24, vcc
	v_add_u32_e32 v24, v24, v10
	v_and_b32_e32 v24, 0xfffff, v24
	v_add_co_u32_e32 v10, vcc, v24, v10
	v_add_u32_e32 v27, 6, v33
	v_addc_co_u32_e32 v11, vcc, 0, v11, vcc
	v_cmp_ne_u32_e32 vcc, 0, v27
                                        ; implicit-def: $vgpr24
	s_and_saveexec_b64 s[18:19], vcc
	s_xor_b64 s[18:19], exec, s[18:19]
; %bb.603:                              ;   in Loop: Header=BB0_475 Depth=2
	v_add_u32_e32 v24, 7, v33
	v_cmp_lt_u64_e32 vcc, s[42:43], v[10:11]
	v_cndmask_b32_e32 v24, v27, v24, vcc
	v_cndmask_b32_e64 v27, 0, 1, vcc
	v_lshrrev_b64 v[10:11], v27, v[10:11]
; %bb.604:                              ;   in Loop: Header=BB0_475 Depth=2
	s_andn2_saveexec_b64 s[18:19], s[18:19]
; %bb.605:                              ;   in Loop: Header=BB0_475 Depth=2
	v_bfe_u32 v24, v10, 23, 1
; %bb.606:                              ;   in Loop: Header=BB0_475 Depth=2
	s_or_b64 exec, exec, s[18:19]
	v_lshrrev_b64 v[10:11], 20, v[10:11]
	v_cmp_gt_i32_e32 vcc, 16, v24
	v_cndmask_b32_e32 v11, 0, v11, vcc
	v_cndmask_b32_e32 v10, 7, v10, vcc
	v_cmp_eq_u64_e64 s[18:19], 0, v[10:11]
	v_min_i32_e32 v11, 15, v24
	v_cmp_eq_u32_e32 vcc, 0, v24
	v_lshlrev_b32_e32 v11, 3, v11
	v_and_or_b32 v10, v10, 7, v11
	s_and_b64 s[18:19], vcc, s[18:19]
	v_cndmask_b32_e64 v10, v10, 0, s[18:19]
	v_accvgpr_read_b32 v55, a9
	v_or_b32_e32 v27, v10, v3
	v_accvgpr_read_b32 v54, a8
.LBB0_607:                              ;   in Loop: Header=BB0_475 Depth=2
	s_or_b64 exec, exec, s[50:51]
.LBB0_608:                              ;   in Loop: Header=BB0_475 Depth=2
	s_or_b64 exec, exec, s[48:49]
                                        ; implicit-def: $vgpr33
                                        ; implicit-def: $vgpr10_vgpr11
.LBB0_609:                              ;   in Loop: Header=BB0_475 Depth=2
	s_andn2_saveexec_b64 s[18:19], s[46:47]
; %bb.610:                              ;   in Loop: Header=BB0_475 Depth=2
	v_or_b32_sdwa v3, v33, s64 dst_sel:DWORD dst_unused:UNUSED_PAD src0_sel:BYTE_3 src1_sel:DWORD
	v_cmp_eq_u64_e32 vcc, 0, v[10:11]
	v_cndmask_b32_e32 v27, v3, v27, vcc
; %bb.611:                              ;   in Loop: Header=BB0_475 Depth=2
	s_or_b64 exec, exec, s[18:19]
	v_lshrrev_b32_e32 v24, 24, v2
	v_lshrrev_b32_e32 v10, 24, v22
	v_cmp_lt_u32_e32 vcc, s66, v2
                                        ; implicit-def: $vgpr3
	s_and_saveexec_b64 s[18:19], s[14:15]
	s_xor_b64 s[46:47], exec, s[18:19]
	s_cbranch_execz .LBB0_625
; %bb.612:                              ;   in Loop: Header=BB0_475 Depth=2
	v_mov_b32_e32 v11, 0
	v_mov_b32_e32 v3, 0
	s_and_saveexec_b64 s[48:49], vcc
	s_cbranch_execz .LBB0_618
; %bb.613:                              ;   in Loop: Header=BB0_475 Depth=2
	v_cmp_ne_u32_e64 s[18:19], s63, v24
	v_bfrev_b32_e32 v3, 1
	s_and_saveexec_b64 s[50:51], s[18:19]
	s_cbranch_execz .LBB0_617
; %bb.614:                              ;   in Loop: Header=BB0_475 Depth=2
	v_bfe_u32 v2, v2, 24, 7
	v_cmp_ne_u32_e64 s[18:19], s64, v2
	v_mov_b32_e32 v3, 0x7f800001
	s_and_saveexec_b64 s[52:53], s[18:19]
	s_cbranch_execz .LBB0_616
; %bb.615:                              ;   in Loop: Header=BB0_475 Depth=2
	v_and_b32_e32 v3, 7, v24
	v_ffbh_u32_e32 v36, v3
	v_min_u32_e32 v36, 32, v36
	v_subrev_u32_e32 v37, 28, v36
	v_lshlrev_b64 v[48:49], v37, v[24:25]
	v_lshrrev_b32_e32 v33, 3, v2
	v_sub_u32_e32 v36, 29, v36
	v_and_b32_e32 v37, 7, v48
	v_cmp_gt_u32_e64 s[18:19], 8, v2
	v_cndmask_b32_e64 v2, v33, v36, s[18:19]
	v_cndmask_b32_e64 v3, v3, v37, s[18:19]
	v_lshlrev_b32_e32 v24, 24, v24
	v_lshlrev_b32_e32 v3, 20, v3
	v_and_b32_e32 v24, 0x80000000, v24
	v_lshl_add_u32 v2, v2, 23, v46
	v_or3_b32 v3, v24, v2, v3
.LBB0_616:                              ;   in Loop: Header=BB0_475 Depth=2
	s_or_b64 exec, exec, s[52:53]
.LBB0_617:                              ;   in Loop: Header=BB0_475 Depth=2
	s_or_b64 exec, exec, s[50:51]
.LBB0_618:                              ;   in Loop: Header=BB0_475 Depth=2
	s_or_b64 exec, exec, s[48:49]
	v_cmp_lt_u32_e64 s[18:19], s66, v22
	s_and_saveexec_b64 s[48:49], s[18:19]
	s_cbranch_execz .LBB0_624
; %bb.619:                              ;   in Loop: Header=BB0_475 Depth=2
	v_cmp_ne_u32_sdwa s[18:19], v22, s63 src0_sel:BYTE_3 src1_sel:DWORD
	v_bfrev_b32_e32 v11, 1
	s_and_saveexec_b64 s[50:51], s[18:19]
	s_cbranch_execz .LBB0_623
; %bb.620:                              ;   in Loop: Header=BB0_475 Depth=2
	v_bfe_u32 v2, v22, 24, 7
	v_cmp_ne_u32_e64 s[18:19], s64, v2
	v_mov_b32_e32 v11, 0x7f800001
	s_and_saveexec_b64 s[52:53], s[18:19]
	s_cbranch_execz .LBB0_622
; %bb.621:                              ;   in Loop: Header=BB0_475 Depth=2
	v_and_b32_e32 v24, 7, v10
	v_ffbh_u32_e32 v11, v24
	v_min_u32_e32 v36, 32, v11
	v_subrev_u32_e32 v11, 28, v36
	v_lshlrev_b64 v[10:11], v11, v[10:11]
	v_lshrrev_b32_e32 v33, 3, v2
	v_sub_u32_e32 v11, 29, v36
	v_and_b32_e32 v10, 7, v10
	v_cmp_gt_u32_e64 s[18:19], 8, v2
	v_cndmask_b32_e64 v2, v33, v11, s[18:19]
	v_cndmask_b32_e64 v10, v24, v10, s[18:19]
	v_lshlrev_b32_sdwa v11, v6, v22 dst_sel:DWORD dst_unused:UNUSED_PAD src0_sel:DWORD src1_sel:BYTE_3
	v_lshlrev_b32_e32 v10, 20, v10
	v_and_b32_e32 v11, 0x80000000, v11
	v_lshl_add_u32 v2, v2, 23, v46
	v_or3_b32 v11, v11, v2, v10
.LBB0_622:                              ;   in Loop: Header=BB0_475 Depth=2
	s_or_b64 exec, exec, s[52:53]
.LBB0_623:                              ;   in Loop: Header=BB0_475 Depth=2
	s_or_b64 exec, exec, s[50:51]
.LBB0_624:                              ;   in Loop: Header=BB0_475 Depth=2
	s_or_b64 exec, exec, s[48:49]
	v_max_f32_e32 v2, v11, v11
	v_max_f32_e32 v3, v3, v3
	;; [unrolled: 1-line block ×3, first 2 shown]
                                        ; implicit-def: $vgpr24
                                        ; implicit-def: $vgpr10
.LBB0_625:                              ;   in Loop: Header=BB0_475 Depth=2
	s_andn2_saveexec_b64 s[18:19], s[46:47]
	s_cbranch_execz .LBB0_639
; %bb.626:                              ;   in Loop: Header=BB0_475 Depth=2
	v_mov_b32_e32 v11, 0
	v_mov_b32_e32 v3, 0
	s_and_saveexec_b64 s[46:47], vcc
	s_cbranch_execz .LBB0_632
; %bb.627:                              ;   in Loop: Header=BB0_475 Depth=2
	v_cmp_ne_u32_e32 vcc, s63, v24
	v_bfrev_b32_e32 v3, 1
	s_and_saveexec_b64 s[48:49], vcc
	s_cbranch_execz .LBB0_631
; %bb.628:                              ;   in Loop: Header=BB0_475 Depth=2
	v_bfe_u32 v2, v2, 24, 7
	v_cmp_ne_u32_e32 vcc, s64, v2
	v_mov_b32_e32 v3, 0x7f800001
	s_and_saveexec_b64 s[50:51], vcc
	s_cbranch_execz .LBB0_630
; %bb.629:                              ;   in Loop: Header=BB0_475 Depth=2
	v_and_b32_e32 v3, 7, v24
	v_ffbh_u32_e32 v36, v3
	v_min_u32_e32 v36, 32, v36
	v_subrev_u32_e32 v37, 28, v36
	v_lshlrev_b64 v[48:49], v37, v[24:25]
	v_lshrrev_b32_e32 v33, 3, v2
	v_sub_u32_e32 v36, 29, v36
	v_and_b32_e32 v37, 7, v48
	v_cmp_gt_u32_e32 vcc, 8, v2
	v_cndmask_b32_e32 v2, v33, v36, vcc
	v_cndmask_b32_e32 v3, v3, v37, vcc
	v_lshlrev_b32_e32 v24, 24, v24
	v_lshlrev_b32_e32 v3, 20, v3
	v_and_b32_e32 v24, 0x80000000, v24
	v_lshl_add_u32 v2, v2, 23, v46
	v_or3_b32 v3, v24, v2, v3
.LBB0_630:                              ;   in Loop: Header=BB0_475 Depth=2
	s_or_b64 exec, exec, s[50:51]
.LBB0_631:                              ;   in Loop: Header=BB0_475 Depth=2
	s_or_b64 exec, exec, s[48:49]
.LBB0_632:                              ;   in Loop: Header=BB0_475 Depth=2
	s_or_b64 exec, exec, s[46:47]
	v_cmp_lt_u32_e32 vcc, s66, v22
	s_and_saveexec_b64 s[46:47], vcc
	s_cbranch_execz .LBB0_638
; %bb.633:                              ;   in Loop: Header=BB0_475 Depth=2
	v_cmp_ne_u32_sdwa vcc, v22, s63 src0_sel:BYTE_3 src1_sel:DWORD
	v_bfrev_b32_e32 v11, 1
	s_and_saveexec_b64 s[48:49], vcc
	s_cbranch_execz .LBB0_637
; %bb.634:                              ;   in Loop: Header=BB0_475 Depth=2
	v_bfe_u32 v2, v22, 24, 7
	v_cmp_ne_u32_e32 vcc, s64, v2
	v_mov_b32_e32 v11, 0x7f800001
	s_and_saveexec_b64 s[50:51], vcc
	s_cbranch_execz .LBB0_636
; %bb.635:                              ;   in Loop: Header=BB0_475 Depth=2
	v_and_b32_e32 v24, 7, v10
	v_ffbh_u32_e32 v11, v24
	v_min_u32_e32 v36, 32, v11
	v_subrev_u32_e32 v11, 28, v36
	v_lshlrev_b64 v[10:11], v11, v[10:11]
	v_lshrrev_b32_e32 v33, 3, v2
	v_sub_u32_e32 v11, 29, v36
	v_and_b32_e32 v10, 7, v10
	v_cmp_gt_u32_e32 vcc, 8, v2
	v_cndmask_b32_e32 v2, v33, v11, vcc
	v_cndmask_b32_e32 v10, v24, v10, vcc
	v_lshlrev_b32_sdwa v11, v6, v22 dst_sel:DWORD dst_unused:UNUSED_PAD src0_sel:DWORD src1_sel:BYTE_3
	v_lshlrev_b32_e32 v10, 20, v10
	v_and_b32_e32 v11, 0x80000000, v11
	v_lshl_add_u32 v2, v2, 23, v46
	v_or3_b32 v11, v11, v2, v10
.LBB0_636:                              ;   in Loop: Header=BB0_475 Depth=2
	s_or_b64 exec, exec, s[50:51]
.LBB0_637:                              ;   in Loop: Header=BB0_475 Depth=2
	s_or_b64 exec, exec, s[48:49]
.LBB0_638:                              ;   in Loop: Header=BB0_475 Depth=2
	s_or_b64 exec, exec, s[46:47]
	v_max_f32_e32 v2, v11, v11
	v_max_f32_e32 v3, v3, v3
	v_min_f32_e32 v3, v3, v2
.LBB0_639:                              ;   in Loop: Header=BB0_475 Depth=2
	s_or_b64 exec, exec, s[18:19]
	v_and_b32_sdwa v10, v3, s63 dst_sel:DWORD dst_unused:UNUSED_PAD src0_sel:BYTE_3 src1_sel:DWORD
	v_and_b32_e32 v48, 0x7f800000, v3
	v_mov_b32_e32 v49, v23
	v_and_b32_e32 v22, 0x7fffff, v3
	v_or_b32_e32 v11, 0x7e, v10
	v_cmp_ne_u64_e32 vcc, s[38:39], v[48:49]
	s_and_saveexec_b64 s[18:19], vcc
	s_xor_b64 s[46:47], exec, s[18:19]
	s_cbranch_execz .LBB0_649
; %bb.640:                              ;   in Loop: Header=BB0_475 Depth=2
	v_and_b32_e32 v48, 0x7fffffff, v3
	v_mov_b32_e32 v49, v23
	v_cmp_gt_u64_e32 vcc, s[40:41], v[48:49]
	s_and_saveexec_b64 s[48:49], vcc
	s_cbranch_execz .LBB0_648
; %bb.641:                              ;   in Loop: Header=BB0_475 Depth=2
	v_cmp_ne_u32_e32 vcc, 0, v3
	v_mov_b32_e32 v11, 0
	s_and_saveexec_b64 s[50:51], vcc
	s_cbranch_execz .LBB0_647
; %bb.642:                              ;   in Loop: Header=BB0_475 Depth=2
	v_bfe_u32 v2, v3, 23, 8
	v_sub_u32_e32 v11, 0x79, v2
	v_cmp_gt_u32_e32 vcc, s65, v2
	v_cndmask_b32_e32 v11, 0, v11, vcc
	v_cmp_eq_u32_e32 vcc, 0, v2
	v_cndmask_b32_e32 v11, v11, v30, vcc
	v_add_u32_e32 v3, 0xffffff81, v2
	v_or_b32_e32 v24, 0x800000, v22
	v_add_u32_e32 v2, 20, v11
	v_cndmask_b32_e32 v33, v3, v47, vcc
	v_cndmask_b32_e32 v22, v24, v22, vcc
	v_lshlrev_b64 v[2:3], v2, -1
	v_not_b32_e32 v2, v2
	v_lshrrev_b64 v[54:55], v11, v[22:23]
	v_not_b32_e32 v3, v3
	v_and_b32_e32 v2, v22, v2
	v_add_u32_e32 v24, 19, v11
	v_lshrrev_b32_e32 v22, 23, v54
	v_and_b32_e32 v3, 0, v3
	v_lshlrev_b64 v[48:49], v24, 1
	v_add3_u32 v33, v11, v33, v22
	v_bfe_u32 v11, v54, 20, 1
	v_add_u32_e32 v11, -1, v11
	v_cmp_eq_u64_e32 vcc, v[2:3], v[48:49]
	v_cndmask_b32_e32 v2, 0, v11, vcc
	v_add_u32_e32 v2, v2, v54
	v_and_b32_e32 v2, 0xfffff, v2
	v_add_co_u32_e32 v2, vcc, v2, v54
	v_add_u32_e32 v24, 6, v33
	v_addc_co_u32_e32 v3, vcc, 0, v55, vcc
	v_cmp_ne_u32_e32 vcc, 0, v24
                                        ; implicit-def: $vgpr11
	s_and_saveexec_b64 s[18:19], vcc
	s_xor_b64 s[18:19], exec, s[18:19]
; %bb.643:                              ;   in Loop: Header=BB0_475 Depth=2
	v_cmp_lt_u64_e32 vcc, s[42:43], v[2:3]
	v_add_u32_e32 v11, 7, v33
	v_cndmask_b32_e64 v22, 0, 1, vcc
	v_cndmask_b32_e32 v11, v24, v11, vcc
	v_lshrrev_b64 v[2:3], v22, v[2:3]
; %bb.644:                              ;   in Loop: Header=BB0_475 Depth=2
	s_andn2_saveexec_b64 s[18:19], s[18:19]
; %bb.645:                              ;   in Loop: Header=BB0_475 Depth=2
	v_bfe_u32 v11, v2, 23, 1
; %bb.646:                              ;   in Loop: Header=BB0_475 Depth=2
	s_or_b64 exec, exec, s[18:19]
	v_lshrrev_b64 v[2:3], 20, v[2:3]
	v_cmp_gt_i32_e32 vcc, 16, v11
	v_cndmask_b32_e32 v3, 0, v3, vcc
	v_cndmask_b32_e32 v2, 7, v2, vcc
	v_cmp_eq_u64_e64 s[18:19], 0, v[2:3]
	v_min_i32_e32 v3, 15, v11
	v_cmp_eq_u32_e32 vcc, 0, v11
	v_lshlrev_b32_e32 v3, 3, v3
	v_and_or_b32 v2, v2, 7, v3
	s_and_b64 s[18:19], vcc, s[18:19]
	v_cndmask_b32_e64 v2, v2, 0, s[18:19]
	v_accvgpr_read_b32 v55, a9
	v_or_b32_e32 v11, v2, v10
	v_accvgpr_read_b32 v54, a8
.LBB0_647:                              ;   in Loop: Header=BB0_475 Depth=2
	s_or_b64 exec, exec, s[50:51]
.LBB0_648:                              ;   in Loop: Header=BB0_475 Depth=2
	s_or_b64 exec, exec, s[48:49]
                                        ; implicit-def: $vgpr3
.LBB0_649:                              ;   in Loop: Header=BB0_475 Depth=2
	s_andn2_saveexec_b64 s[18:19], s[46:47]
; %bb.650:                              ;   in Loop: Header=BB0_475 Depth=2
	v_or_b32_sdwa v2, v3, s64 dst_sel:DWORD dst_unused:UNUSED_PAD src0_sel:BYTE_3 src1_sel:DWORD
	v_cmp_eq_u64_e32 vcc, 0, v[22:23]
	v_cndmask_b32_e32 v11, v2, v11, vcc
; %bb.651:                              ;   in Loop: Header=BB0_475 Depth=2
	s_or_b64 exec, exec, s[18:19]
	v_alignbit_b32 v22, v31, v32, v5
	v_mov_b32_e32 v5, v23
	v_cmp_ne_u16_sdwa s[18:19], v4, v23 src0_sel:BYTE_0 src1_sel:DWORD
                                        ; implicit-def: $vgpr10
	s_and_saveexec_b64 vcc, s[14:15]
	s_xor_b64 s[46:47], exec, vcc
	s_cbranch_execz .LBB0_665
; %bb.652:                              ;   in Loop: Header=BB0_475 Depth=2
	v_mov_b32_e32 v3, 0
	v_mov_b32_e32 v2, 0
	s_and_saveexec_b64 s[48:49], s[18:19]
	s_cbranch_execz .LBB0_658
; %bb.653:                              ;   in Loop: Header=BB0_475 Depth=2
	v_cmp_ne_u16_sdwa vcc, v4, s63 src0_sel:BYTE_0 src1_sel:DWORD
	v_bfrev_b32_e32 v2, 1
	s_and_saveexec_b64 s[50:51], vcc
	s_cbranch_execz .LBB0_657
; %bb.654:                              ;   in Loop: Header=BB0_475 Depth=2
	v_and_b32_e32 v10, 0x7f, v4
	v_cmp_ne_u32_e32 vcc, s64, v10
	v_mov_b32_e32 v2, 0x7f800001
	s_and_saveexec_b64 s[52:53], vcc
	s_cbranch_execz .LBB0_656
; %bb.655:                              ;   in Loop: Header=BB0_475 Depth=2
	v_and_b32_e32 v2, 7, v4
	v_ffbh_u32_e32 v2, v2
	v_min_u32_e32 v2, 32, v2
	v_subrev_u32_e32 v31, 28, v2
	v_cmp_gt_u32_e32 vcc, 8, v10
	v_lshrrev_b32_e32 v24, 3, v10
	v_cndmask_b32_e32 v10, 0, v31, vcc
	v_sub_u32_e32 v2, 29, v2
	v_lshlrev_b64 v[32:33], v10, v[4:5]
	v_cndmask_b32_e32 v2, v24, v2, vcc
	v_lshlrev_b32_e32 v5, 20, v32
	v_lshlrev_b32_e32 v10, 24, v4
	v_and_b32_e32 v5, 0x700000, v5
	v_and_b32_e32 v10, 0x80000000, v10
	v_lshl_add_u32 v2, v2, 23, v46
	v_or3_b32 v2, v10, v2, v5
.LBB0_656:                              ;   in Loop: Header=BB0_475 Depth=2
	s_or_b64 exec, exec, s[52:53]
.LBB0_657:                              ;   in Loop: Header=BB0_475 Depth=2
	s_or_b64 exec, exec, s[50:51]
.LBB0_658:                              ;   in Loop: Header=BB0_475 Depth=2
	s_or_b64 exec, exec, s[48:49]
	v_cmp_ne_u16_sdwa vcc, v22, v23 src0_sel:BYTE_0 src1_sel:DWORD
	s_and_saveexec_b64 s[48:49], vcc
	s_cbranch_execz .LBB0_664
; %bb.659:                              ;   in Loop: Header=BB0_475 Depth=2
	v_cmp_ne_u16_sdwa vcc, v22, s63 src0_sel:BYTE_0 src1_sel:DWORD
	v_bfrev_b32_e32 v3, 1
	s_and_saveexec_b64 s[50:51], vcc
	s_cbranch_execz .LBB0_663
; %bb.660:                              ;   in Loop: Header=BB0_475 Depth=2
	v_and_b32_e32 v5, 0x7f, v22
	v_cmp_ne_u32_e32 vcc, s64, v5
	v_mov_b32_e32 v3, 0x7f800001
	s_and_saveexec_b64 s[52:53], vcc
	s_cbranch_execz .LBB0_662
; %bb.661:                              ;   in Loop: Header=BB0_475 Depth=2
	v_and_b32_e32 v3, 7, v22
	v_ffbh_u32_e32 v3, v3
	v_min_u32_e32 v3, 32, v3
	v_subrev_u32_e32 v24, 28, v3
	v_cmp_gt_u32_e32 vcc, 8, v5
	v_lshrrev_b32_e32 v10, 3, v5
	v_cndmask_b32_e32 v5, 0, v24, vcc
	v_sub_u32_e32 v3, 29, v3
	v_lshlrev_b64 v[32:33], v5, v[22:23]
	v_cndmask_b32_e32 v3, v10, v3, vcc
	v_lshlrev_b32_e32 v5, 20, v32
	v_lshlrev_b32_e32 v10, 24, v22
	v_and_b32_e32 v5, 0x700000, v5
	v_and_b32_e32 v10, 0x80000000, v10
	v_lshl_add_u32 v3, v3, 23, v46
	v_or3_b32 v3, v10, v3, v5
.LBB0_662:                              ;   in Loop: Header=BB0_475 Depth=2
	s_or_b64 exec, exec, s[52:53]
.LBB0_663:                              ;   in Loop: Header=BB0_475 Depth=2
	s_or_b64 exec, exec, s[50:51]
.LBB0_664:                              ;   in Loop: Header=BB0_475 Depth=2
	s_or_b64 exec, exec, s[48:49]
	v_max_f32_e32 v3, v3, v3
	v_max_f32_e32 v2, v2, v2
	v_max_f32_e32 v10, v2, v3
.LBB0_665:                              ;   in Loop: Header=BB0_475 Depth=2
	s_andn2_saveexec_b64 s[46:47], s[46:47]
	s_cbranch_execz .LBB0_679
; %bb.666:                              ;   in Loop: Header=BB0_475 Depth=2
	v_mov_b32_e32 v3, 0
	v_mov_b32_e32 v2, 0
	s_and_saveexec_b64 s[48:49], s[18:19]
	s_cbranch_execz .LBB0_672
; %bb.667:                              ;   in Loop: Header=BB0_475 Depth=2
	v_cmp_ne_u16_sdwa vcc, v4, s63 src0_sel:BYTE_0 src1_sel:DWORD
	v_bfrev_b32_e32 v2, 1
	s_and_saveexec_b64 s[18:19], vcc
	s_cbranch_execz .LBB0_671
; %bb.668:                              ;   in Loop: Header=BB0_475 Depth=2
	v_and_b32_e32 v10, 0x7f, v4
	v_cmp_ne_u32_e32 vcc, s64, v10
	v_mov_b32_e32 v2, 0x7f800001
	s_and_saveexec_b64 s[50:51], vcc
	s_cbranch_execz .LBB0_670
; %bb.669:                              ;   in Loop: Header=BB0_475 Depth=2
	v_and_b32_e32 v2, 7, v4
	v_ffbh_u32_e32 v2, v2
	v_min_u32_e32 v2, 32, v2
	v_subrev_u32_e32 v31, 28, v2
	v_cmp_gt_u32_e32 vcc, 8, v10
	v_lshrrev_b32_e32 v24, 3, v10
	v_cndmask_b32_e32 v10, 0, v31, vcc
	v_sub_u32_e32 v2, 29, v2
	v_lshlrev_b64 v[32:33], v10, v[4:5]
	v_cndmask_b32_e32 v2, v24, v2, vcc
	v_lshlrev_b32_e32 v5, 20, v32
	v_lshlrev_b32_e32 v10, 24, v4
	v_and_b32_e32 v5, 0x700000, v5
	v_and_b32_e32 v10, 0x80000000, v10
	v_lshl_add_u32 v2, v2, 23, v46
	v_or3_b32 v2, v10, v2, v5
.LBB0_670:                              ;   in Loop: Header=BB0_475 Depth=2
	s_or_b64 exec, exec, s[50:51]
.LBB0_671:                              ;   in Loop: Header=BB0_475 Depth=2
	s_or_b64 exec, exec, s[18:19]
.LBB0_672:                              ;   in Loop: Header=BB0_475 Depth=2
	s_or_b64 exec, exec, s[48:49]
	v_cmp_ne_u16_sdwa vcc, v22, v23 src0_sel:BYTE_0 src1_sel:DWORD
	s_and_saveexec_b64 s[18:19], vcc
	s_cbranch_execz .LBB0_678
; %bb.673:                              ;   in Loop: Header=BB0_475 Depth=2
	v_cmp_ne_u16_sdwa vcc, v22, s63 src0_sel:BYTE_0 src1_sel:DWORD
	v_bfrev_b32_e32 v3, 1
	s_and_saveexec_b64 s[48:49], vcc
	s_cbranch_execz .LBB0_677
; %bb.674:                              ;   in Loop: Header=BB0_475 Depth=2
	v_and_b32_e32 v5, 0x7f, v22
	v_cmp_ne_u32_e32 vcc, s64, v5
	v_mov_b32_e32 v3, 0x7f800001
	s_and_saveexec_b64 s[50:51], vcc
	s_cbranch_execz .LBB0_676
; %bb.675:                              ;   in Loop: Header=BB0_475 Depth=2
	v_and_b32_e32 v3, 7, v22
	v_ffbh_u32_e32 v3, v3
	v_min_u32_e32 v3, 32, v3
	v_subrev_u32_e32 v24, 28, v3
	v_cmp_gt_u32_e32 vcc, 8, v5
	v_lshrrev_b32_e32 v10, 3, v5
	v_cndmask_b32_e32 v5, 0, v24, vcc
	v_sub_u32_e32 v3, 29, v3
	v_lshlrev_b64 v[32:33], v5, v[22:23]
	v_cndmask_b32_e32 v3, v10, v3, vcc
	v_lshlrev_b32_e32 v5, 20, v32
	v_lshlrev_b32_e32 v10, 24, v22
	v_and_b32_e32 v5, 0x700000, v5
	v_and_b32_e32 v10, 0x80000000, v10
	v_lshl_add_u32 v3, v3, 23, v46
	v_or3_b32 v3, v10, v3, v5
.LBB0_676:                              ;   in Loop: Header=BB0_475 Depth=2
	s_or_b64 exec, exec, s[50:51]
.LBB0_677:                              ;   in Loop: Header=BB0_475 Depth=2
	s_or_b64 exec, exec, s[48:49]
.LBB0_678:                              ;   in Loop: Header=BB0_475 Depth=2
	s_or_b64 exec, exec, s[18:19]
	v_max_f32_e32 v3, v3, v3
	v_max_f32_e32 v2, v2, v2
	v_min_f32_e32 v10, v2, v3
.LBB0_679:                              ;   in Loop: Header=BB0_475 Depth=2
	s_or_b64 exec, exec, s[46:47]
	v_and_b32_sdwa v5, v10, s63 dst_sel:DWORD dst_unused:UNUSED_PAD src0_sel:BYTE_3 src1_sel:DWORD
	v_and_b32_e32 v32, 0x7f800000, v10
	v_mov_b32_e32 v33, v23
	v_and_b32_e32 v2, 0x7fffff, v10
	v_mov_b32_e32 v3, v23
	v_or_b32_e32 v24, 0x7e, v5
	v_cmp_ne_u64_e32 vcc, s[38:39], v[32:33]
	s_and_saveexec_b64 s[18:19], vcc
	s_xor_b64 s[46:47], exec, s[18:19]
	s_cbranch_execz .LBB0_689
; %bb.680:                              ;   in Loop: Header=BB0_475 Depth=2
	v_and_b32_e32 v32, 0x7fffffff, v10
	v_mov_b32_e32 v33, v23
	v_cmp_gt_u64_e32 vcc, s[40:41], v[32:33]
	s_and_saveexec_b64 s[48:49], vcc
	s_cbranch_execz .LBB0_688
; %bb.681:                              ;   in Loop: Header=BB0_475 Depth=2
	v_cmp_ne_u32_e32 vcc, 0, v10
	v_mov_b32_e32 v24, 0
	s_and_saveexec_b64 s[50:51], vcc
	s_cbranch_execz .LBB0_687
; %bb.682:                              ;   in Loop: Header=BB0_475 Depth=2
	v_bfe_u32 v10, v10, 23, 8
	v_sub_u32_e32 v31, 0x79, v10
	v_cmp_gt_u32_e32 vcc, s65, v10
	v_add_u32_e32 v24, 0xffffff81, v10
	v_cndmask_b32_e32 v31, 0, v31, vcc
	v_cmp_eq_u32_e32 vcc, 0, v10
	v_cndmask_b32_e32 v10, v24, v47, vcc
	v_cndmask_b32_e32 v24, v31, v30, vcc
	v_or_b32_e32 v32, 0x800000, v2
	v_add_u32_e32 v31, 20, v24
	v_cndmask_b32_e32 v2, v32, v2, vcc
	v_lshlrev_b64 v[32:33], v31, -1
	v_not_b32_e32 v31, v33
	v_not_b32_e32 v32, v32
	v_and_b32_e32 v33, 0, v31
	v_and_b32_e32 v32, v2, v32
	v_add_u32_e32 v31, 19, v24
	v_lshrrev_b64 v[2:3], v24, v[2:3]
	v_lshlrev_b64 v[48:49], v31, 1
	v_lshrrev_b32_e32 v31, 23, v2
	v_add3_u32 v31, v24, v10, v31
	v_bfe_u32 v10, v2, 20, 1
	v_add_u32_e32 v10, -1, v10
	v_cmp_eq_u64_e32 vcc, v[32:33], v[48:49]
	v_cndmask_b32_e32 v10, 0, v10, vcc
	v_add_u32_e32 v10, v10, v2
	v_and_b32_e32 v10, 0xfffff, v10
	v_add_co_u32_e32 v2, vcc, v10, v2
	v_add_u32_e32 v24, 6, v31
	v_addc_co_u32_e32 v3, vcc, 0, v3, vcc
	v_cmp_ne_u32_e32 vcc, 0, v24
                                        ; implicit-def: $vgpr10
	s_and_saveexec_b64 s[18:19], vcc
	s_xor_b64 s[18:19], exec, s[18:19]
; %bb.683:                              ;   in Loop: Header=BB0_475 Depth=2
	v_add_u32_e32 v10, 7, v31
	v_cmp_lt_u64_e32 vcc, s[42:43], v[2:3]
	v_cndmask_b32_e32 v10, v24, v10, vcc
	v_cndmask_b32_e64 v24, 0, 1, vcc
	v_lshrrev_b64 v[2:3], v24, v[2:3]
; %bb.684:                              ;   in Loop: Header=BB0_475 Depth=2
	s_andn2_saveexec_b64 s[18:19], s[18:19]
; %bb.685:                              ;   in Loop: Header=BB0_475 Depth=2
	v_bfe_u32 v10, v2, 23, 1
; %bb.686:                              ;   in Loop: Header=BB0_475 Depth=2
	s_or_b64 exec, exec, s[18:19]
	v_lshrrev_b64 v[2:3], 20, v[2:3]
	v_cmp_gt_i32_e32 vcc, 16, v10
	v_cndmask_b32_e32 v3, 0, v3, vcc
	v_cndmask_b32_e32 v2, 7, v2, vcc
	v_cmp_eq_u64_e64 s[18:19], 0, v[2:3]
	v_min_i32_e32 v3, 15, v10
	v_cmp_eq_u32_e32 vcc, 0, v10
	v_lshlrev_b32_e32 v3, 3, v3
	v_and_or_b32 v2, v2, 7, v3
	s_and_b64 s[18:19], vcc, s[18:19]
	v_cndmask_b32_e64 v2, v2, 0, s[18:19]
	v_or_b32_e32 v24, v2, v5
.LBB0_687:                              ;   in Loop: Header=BB0_475 Depth=2
	s_or_b64 exec, exec, s[50:51]
.LBB0_688:                              ;   in Loop: Header=BB0_475 Depth=2
	s_or_b64 exec, exec, s[48:49]
                                        ; implicit-def: $vgpr10
                                        ; implicit-def: $vgpr2_vgpr3
.LBB0_689:                              ;   in Loop: Header=BB0_475 Depth=2
	s_andn2_saveexec_b64 s[18:19], s[46:47]
; %bb.690:                              ;   in Loop: Header=BB0_475 Depth=2
	v_or_b32_sdwa v5, v10, s64 dst_sel:DWORD dst_unused:UNUSED_PAD src0_sel:BYTE_3 src1_sel:DWORD
	v_cmp_eq_u64_e32 vcc, 0, v[2:3]
	v_cndmask_b32_e32 v24, v5, v24, vcc
; %bb.691:                              ;   in Loop: Header=BB0_475 Depth=2
	s_or_b64 exec, exec, s[18:19]
	v_lshrrev_b16_e32 v10, 8, v4
	v_lshrrev_b16_e32 v2, 8, v22
	v_cmp_ne_u16_e32 vcc, 0, v10
                                        ; implicit-def: $vgpr32
	s_and_saveexec_b64 s[18:19], s[14:15]
	s_xor_b64 s[46:47], exec, s[18:19]
	s_cbranch_execz .LBB0_705
; %bb.692:                              ;   in Loop: Header=BB0_475 Depth=2
	v_mov_b32_e32 v5, 0
	v_mov_b32_e32 v3, 0
	s_and_saveexec_b64 s[48:49], vcc
	s_cbranch_execz .LBB0_698
; %bb.693:                              ;   in Loop: Header=BB0_475 Depth=2
	v_cmp_ne_u16_e64 s[18:19], s63, v10
	v_bfrev_b32_e32 v3, 1
	s_and_saveexec_b64 s[50:51], s[18:19]
	s_cbranch_execz .LBB0_697
; %bb.694:                              ;   in Loop: Header=BB0_475 Depth=2
	v_and_b32_e32 v31, 0x7f, v10
	v_cmp_ne_u32_e64 s[18:19], s64, v31
	v_mov_b32_e32 v3, 0x7f800001
	s_and_saveexec_b64 s[52:53], s[18:19]
	s_cbranch_execz .LBB0_696
; %bb.695:                              ;   in Loop: Header=BB0_475 Depth=2
	v_and_b32_e32 v3, 7, v10
	v_ffbh_u32_e32 v32, v3
	v_min_u32_e32 v37, 32, v32
	v_subrev_u32_e32 v32, 28, v37
	v_lshlrev_b64 v[32:33], v32, v[10:11]
	v_lshrrev_b32_e32 v36, 3, v31
	v_sub_u32_e32 v10, 29, v37
	v_and_b32_e32 v32, 7, v32
	v_cmp_gt_u32_e64 s[18:19], 8, v31
	v_cndmask_b32_e64 v10, v36, v10, s[18:19]
	v_cndmask_b32_e64 v3, v3, v32, s[18:19]
	v_lshlrev_b32_e32 v31, 16, v4
	v_lshlrev_b32_e32 v3, 20, v3
	v_and_b32_e32 v31, 0x80000000, v31
	v_lshl_add_u32 v10, v10, 23, v46
	v_or3_b32 v3, v31, v10, v3
.LBB0_696:                              ;   in Loop: Header=BB0_475 Depth=2
	s_or_b64 exec, exec, s[52:53]
.LBB0_697:                              ;   in Loop: Header=BB0_475 Depth=2
	s_or_b64 exec, exec, s[50:51]
.LBB0_698:                              ;   in Loop: Header=BB0_475 Depth=2
	s_or_b64 exec, exec, s[48:49]
	v_cmp_ne_u16_e64 s[18:19], 0, v2
	s_and_saveexec_b64 s[48:49], s[18:19]
	s_cbranch_execz .LBB0_704
; %bb.699:                              ;   in Loop: Header=BB0_475 Depth=2
	v_cmp_ne_u16_e64 s[18:19], s63, v2
	v_bfrev_b32_e32 v5, 1
	s_and_saveexec_b64 s[50:51], s[18:19]
	s_cbranch_execz .LBB0_703
; %bb.700:                              ;   in Loop: Header=BB0_475 Depth=2
	v_and_b32_e32 v10, 0x7f, v2
	v_cmp_ne_u32_e64 s[18:19], s64, v10
	v_mov_b32_e32 v5, 0x7f800001
	s_and_saveexec_b64 s[52:53], s[18:19]
	s_cbranch_execz .LBB0_702
; %bb.701:                              ;   in Loop: Header=BB0_475 Depth=2
	v_and_b32_e32 v5, 7, v2
	v_ffbh_u32_e32 v32, v5
	v_min_u32_e32 v36, 32, v32
	v_subrev_u32_e32 v32, 28, v36
	v_lshlrev_b64 v[32:33], v32, v[2:3]
	v_lshrrev_b32_e32 v31, 3, v10
	v_sub_u32_e32 v2, 29, v36
	v_and_b32_e32 v32, 7, v32
	v_cmp_gt_u32_e64 s[18:19], 8, v10
	v_cndmask_b32_e64 v2, v31, v2, s[18:19]
	v_cndmask_b32_e64 v5, v5, v32, s[18:19]
	v_lshlrev_b32_e32 v10, 16, v22
	v_lshlrev_b32_e32 v5, 20, v5
	v_and_b32_e32 v10, 0x80000000, v10
	v_lshl_add_u32 v2, v2, 23, v46
	v_or3_b32 v5, v10, v2, v5
.LBB0_702:                              ;   in Loop: Header=BB0_475 Depth=2
	s_or_b64 exec, exec, s[52:53]
.LBB0_703:                              ;   in Loop: Header=BB0_475 Depth=2
	s_or_b64 exec, exec, s[50:51]
.LBB0_704:                              ;   in Loop: Header=BB0_475 Depth=2
	s_or_b64 exec, exec, s[48:49]
	v_max_f32_e32 v2, v5, v5
	v_max_f32_e32 v3, v3, v3
	;; [unrolled: 1-line block ×3, first 2 shown]
                                        ; implicit-def: $vgpr2
                                        ; implicit-def: $vgpr10
.LBB0_705:                              ;   in Loop: Header=BB0_475 Depth=2
	s_andn2_saveexec_b64 s[18:19], s[46:47]
	s_cbranch_execz .LBB0_719
; %bb.706:                              ;   in Loop: Header=BB0_475 Depth=2
	v_mov_b32_e32 v5, 0
	v_mov_b32_e32 v3, 0
	s_and_saveexec_b64 s[46:47], vcc
	s_cbranch_execz .LBB0_712
; %bb.707:                              ;   in Loop: Header=BB0_475 Depth=2
	v_cmp_ne_u16_e32 vcc, s63, v10
	v_bfrev_b32_e32 v3, 1
	s_and_saveexec_b64 s[48:49], vcc
	s_cbranch_execz .LBB0_711
; %bb.708:                              ;   in Loop: Header=BB0_475 Depth=2
	v_and_b32_e32 v31, 0x7f, v10
	v_cmp_ne_u32_e32 vcc, s64, v31
	v_mov_b32_e32 v3, 0x7f800001
	s_and_saveexec_b64 s[50:51], vcc
	s_cbranch_execz .LBB0_710
; %bb.709:                              ;   in Loop: Header=BB0_475 Depth=2
	v_and_b32_e32 v3, 7, v10
	v_ffbh_u32_e32 v32, v3
	v_min_u32_e32 v37, 32, v32
	v_subrev_u32_e32 v32, 28, v37
	v_lshlrev_b64 v[32:33], v32, v[10:11]
	v_lshrrev_b32_e32 v36, 3, v31
	v_sub_u32_e32 v10, 29, v37
	v_and_b32_e32 v32, 7, v32
	v_cmp_gt_u32_e32 vcc, 8, v31
	v_cndmask_b32_e32 v10, v36, v10, vcc
	v_cndmask_b32_e32 v3, v3, v32, vcc
	v_lshlrev_b32_e32 v31, 16, v4
	v_lshlrev_b32_e32 v3, 20, v3
	v_and_b32_e32 v31, 0x80000000, v31
	v_lshl_add_u32 v10, v10, 23, v46
	v_or3_b32 v3, v31, v10, v3
.LBB0_710:                              ;   in Loop: Header=BB0_475 Depth=2
	s_or_b64 exec, exec, s[50:51]
.LBB0_711:                              ;   in Loop: Header=BB0_475 Depth=2
	s_or_b64 exec, exec, s[48:49]
.LBB0_712:                              ;   in Loop: Header=BB0_475 Depth=2
	s_or_b64 exec, exec, s[46:47]
	v_cmp_ne_u16_e32 vcc, 0, v2
	s_and_saveexec_b64 s[46:47], vcc
	s_cbranch_execz .LBB0_718
; %bb.713:                              ;   in Loop: Header=BB0_475 Depth=2
	v_cmp_ne_u16_e32 vcc, s63, v2
	v_bfrev_b32_e32 v5, 1
	s_and_saveexec_b64 s[48:49], vcc
	s_cbranch_execz .LBB0_717
; %bb.714:                              ;   in Loop: Header=BB0_475 Depth=2
	v_and_b32_e32 v10, 0x7f, v2
	v_cmp_ne_u32_e32 vcc, s64, v10
	v_mov_b32_e32 v5, 0x7f800001
	s_and_saveexec_b64 s[50:51], vcc
	s_cbranch_execz .LBB0_716
; %bb.715:                              ;   in Loop: Header=BB0_475 Depth=2
	v_and_b32_e32 v5, 7, v2
	v_ffbh_u32_e32 v32, v5
	v_min_u32_e32 v36, 32, v32
	v_subrev_u32_e32 v32, 28, v36
	v_lshlrev_b64 v[32:33], v32, v[2:3]
	v_lshrrev_b32_e32 v31, 3, v10
	v_sub_u32_e32 v2, 29, v36
	v_and_b32_e32 v32, 7, v32
	v_cmp_gt_u32_e32 vcc, 8, v10
	v_cndmask_b32_e32 v2, v31, v2, vcc
	v_cndmask_b32_e32 v5, v5, v32, vcc
	v_lshlrev_b32_e32 v10, 16, v22
	v_lshlrev_b32_e32 v5, 20, v5
	v_and_b32_e32 v10, 0x80000000, v10
	v_lshl_add_u32 v2, v2, 23, v46
	v_or3_b32 v5, v10, v2, v5
.LBB0_716:                              ;   in Loop: Header=BB0_475 Depth=2
	s_or_b64 exec, exec, s[50:51]
.LBB0_717:                              ;   in Loop: Header=BB0_475 Depth=2
	s_or_b64 exec, exec, s[48:49]
.LBB0_718:                              ;   in Loop: Header=BB0_475 Depth=2
	s_or_b64 exec, exec, s[46:47]
	v_max_f32_e32 v2, v5, v5
	v_max_f32_e32 v3, v3, v3
	v_min_f32_e32 v32, v3, v2
.LBB0_719:                              ;   in Loop: Header=BB0_475 Depth=2
	s_or_b64 exec, exec, s[18:19]
	v_and_b32_sdwa v5, v32, s63 dst_sel:DWORD dst_unused:UNUSED_PAD src0_sel:BYTE_3 src1_sel:DWORD
	v_and_b32_e32 v48, 0x7f800000, v32
	v_mov_b32_e32 v49, v23
	v_and_b32_e32 v2, 0x7fffff, v32
	v_mov_b32_e32 v3, v23
	v_or_b32_e32 v31, 0x7e, v5
	v_cmp_ne_u64_e32 vcc, s[38:39], v[48:49]
	s_and_saveexec_b64 s[18:19], vcc
	s_xor_b64 s[46:47], exec, s[18:19]
	s_cbranch_execz .LBB0_729
; %bb.720:                              ;   in Loop: Header=BB0_475 Depth=2
	v_and_b32_e32 v48, 0x7fffffff, v32
	v_mov_b32_e32 v49, v23
	v_cmp_gt_u64_e32 vcc, s[40:41], v[48:49]
	s_and_saveexec_b64 s[48:49], vcc
	s_cbranch_execz .LBB0_728
; %bb.721:                              ;   in Loop: Header=BB0_475 Depth=2
	v_cmp_ne_u32_e32 vcc, 0, v32
	v_mov_b32_e32 v31, 0
	s_and_saveexec_b64 s[50:51], vcc
	s_cbranch_execz .LBB0_727
; %bb.722:                              ;   in Loop: Header=BB0_475 Depth=2
	v_bfe_u32 v10, v32, 23, 8
	v_sub_u32_e32 v32, 0x79, v10
	v_cmp_gt_u32_e32 vcc, s65, v10
	v_add_u32_e32 v31, 0xffffff81, v10
	v_cndmask_b32_e32 v32, 0, v32, vcc
	v_cmp_eq_u32_e32 vcc, 0, v10
	v_cndmask_b32_e32 v10, v31, v47, vcc
	v_cndmask_b32_e32 v31, v32, v30, vcc
	v_or_b32_e32 v33, 0x800000, v2
	v_add_u32_e32 v32, 20, v31
	v_cndmask_b32_e32 v2, v33, v2, vcc
	v_lshlrev_b64 v[32:33], v32, -1
	v_not_b32_e32 v32, v32
	v_and_b32_e32 v48, v2, v32
	v_add_u32_e32 v32, 19, v31
	v_lshrrev_b64 v[2:3], v31, v[2:3]
	v_not_b32_e32 v33, v33
	v_lshlrev_b64 v[54:55], v32, 1
	v_lshrrev_b32_e32 v32, 23, v2
	v_and_b32_e32 v49, 0, v33
	v_add3_u32 v32, v31, v10, v32
	v_bfe_u32 v10, v2, 20, 1
	v_add_u32_e32 v10, -1, v10
	v_cmp_eq_u64_e32 vcc, v[48:49], v[54:55]
	v_cndmask_b32_e32 v10, 0, v10, vcc
	v_add_u32_e32 v10, v10, v2
	v_and_b32_e32 v10, 0xfffff, v10
	v_add_co_u32_e32 v2, vcc, v10, v2
	v_add_u32_e32 v31, 6, v32
	v_addc_co_u32_e32 v3, vcc, 0, v3, vcc
	v_cmp_ne_u32_e32 vcc, 0, v31
                                        ; implicit-def: $vgpr10
	s_and_saveexec_b64 s[18:19], vcc
	s_xor_b64 s[18:19], exec, s[18:19]
; %bb.723:                              ;   in Loop: Header=BB0_475 Depth=2
	v_add_u32_e32 v10, 7, v32
	v_cmp_lt_u64_e32 vcc, s[42:43], v[2:3]
	v_cndmask_b32_e32 v10, v31, v10, vcc
	v_cndmask_b32_e64 v31, 0, 1, vcc
	v_lshrrev_b64 v[2:3], v31, v[2:3]
; %bb.724:                              ;   in Loop: Header=BB0_475 Depth=2
	s_andn2_saveexec_b64 s[18:19], s[18:19]
; %bb.725:                              ;   in Loop: Header=BB0_475 Depth=2
	v_bfe_u32 v10, v2, 23, 1
; %bb.726:                              ;   in Loop: Header=BB0_475 Depth=2
	s_or_b64 exec, exec, s[18:19]
	v_lshrrev_b64 v[2:3], 20, v[2:3]
	v_cmp_gt_i32_e32 vcc, 16, v10
	v_cndmask_b32_e32 v3, 0, v3, vcc
	v_cndmask_b32_e32 v2, 7, v2, vcc
	v_cmp_eq_u64_e64 s[18:19], 0, v[2:3]
	v_min_i32_e32 v3, 15, v10
	v_cmp_eq_u32_e32 vcc, 0, v10
	v_lshlrev_b32_e32 v3, 3, v3
	v_and_or_b32 v2, v2, 7, v3
	s_and_b64 s[18:19], vcc, s[18:19]
	v_cndmask_b32_e64 v2, v2, 0, s[18:19]
	v_accvgpr_read_b32 v55, a9
	v_or_b32_e32 v31, v2, v5
	v_accvgpr_read_b32 v54, a8
.LBB0_727:                              ;   in Loop: Header=BB0_475 Depth=2
	s_or_b64 exec, exec, s[50:51]
.LBB0_728:                              ;   in Loop: Header=BB0_475 Depth=2
	s_or_b64 exec, exec, s[48:49]
                                        ; implicit-def: $vgpr32
                                        ; implicit-def: $vgpr2_vgpr3
.LBB0_729:                              ;   in Loop: Header=BB0_475 Depth=2
	s_andn2_saveexec_b64 s[18:19], s[46:47]
; %bb.730:                              ;   in Loop: Header=BB0_475 Depth=2
	v_or_b32_sdwa v5, v32, s64 dst_sel:DWORD dst_unused:UNUSED_PAD src0_sel:BYTE_3 src1_sel:DWORD
	v_cmp_eq_u64_e32 vcc, 0, v[2:3]
	v_cndmask_b32_e32 v31, v5, v31, vcc
; %bb.731:                              ;   in Loop: Header=BB0_475 Depth=2
	s_or_b64 exec, exec, s[18:19]
	v_lshrrev_b32_e32 v10, 16, v4
	v_lshrrev_b32_e32 v2, 16, v22
	v_cmp_ne_u16_sdwa s[18:19], v10, v23 src0_sel:BYTE_0 src1_sel:DWORD
                                        ; implicit-def: $vgpr33
	s_and_saveexec_b64 vcc, s[14:15]
	s_xor_b64 s[46:47], exec, vcc
	s_cbranch_execz .LBB0_745
; %bb.732:                              ;   in Loop: Header=BB0_475 Depth=2
	v_mov_b32_e32 v5, 0
	v_mov_b32_e32 v3, 0
	s_and_saveexec_b64 s[48:49], s[18:19]
	s_cbranch_execz .LBB0_738
; %bb.733:                              ;   in Loop: Header=BB0_475 Depth=2
	v_cmp_ne_u16_sdwa vcc, v10, s63 src0_sel:BYTE_0 src1_sel:DWORD
	v_bfrev_b32_e32 v3, 1
	s_and_saveexec_b64 s[50:51], vcc
	s_cbranch_execz .LBB0_737
; %bb.734:                              ;   in Loop: Header=BB0_475 Depth=2
	v_bfe_u32 v32, v4, 16, 7
	v_cmp_ne_u32_e32 vcc, s64, v32
	v_mov_b32_e32 v3, 0x7f800001
	s_and_saveexec_b64 s[52:53], vcc
	s_cbranch_execz .LBB0_736
; %bb.735:                              ;   in Loop: Header=BB0_475 Depth=2
	v_and_b32_e32 v3, 7, v10
	v_ffbh_u32_e32 v36, v3
	v_min_u32_e32 v36, 32, v36
	v_subrev_u32_e32 v37, 28, v36
	v_lshlrev_b64 v[48:49], v37, v[10:11]
	v_lshrrev_b32_e32 v33, 3, v32
	v_sub_u32_e32 v36, 29, v36
	v_and_b32_e32 v37, 7, v48
	v_cmp_gt_u32_e32 vcc, 8, v32
	v_cndmask_b32_e32 v32, v33, v36, vcc
	v_cndmask_b32_e32 v3, v3, v37, vcc
	v_lshlrev_b32_e32 v10, 24, v10
	v_lshlrev_b32_e32 v3, 20, v3
	v_and_b32_e32 v10, 0x80000000, v10
	v_lshl_add_u32 v32, v32, 23, v46
	v_or3_b32 v3, v10, v32, v3
.LBB0_736:                              ;   in Loop: Header=BB0_475 Depth=2
	s_or_b64 exec, exec, s[52:53]
.LBB0_737:                              ;   in Loop: Header=BB0_475 Depth=2
	s_or_b64 exec, exec, s[50:51]
.LBB0_738:                              ;   in Loop: Header=BB0_475 Depth=2
	s_or_b64 exec, exec, s[48:49]
	v_and_b32_sdwa v10, v22, s62 dst_sel:DWORD dst_unused:UNUSED_PAD src0_sel:WORD_1 src1_sel:DWORD
	v_cmp_ne_u16_e32 vcc, 0, v10
	s_and_saveexec_b64 s[48:49], vcc
	s_cbranch_execz .LBB0_744
; %bb.739:                              ;   in Loop: Header=BB0_475 Depth=2
	v_cmp_ne_u16_e32 vcc, s63, v10
	v_bfrev_b32_e32 v5, 1
	s_and_saveexec_b64 s[50:51], vcc
	s_cbranch_execz .LBB0_743
; %bb.740:                              ;   in Loop: Header=BB0_475 Depth=2
	v_bfe_u32 v10, v22, 16, 7
	v_cmp_ne_u32_e32 vcc, s64, v10
	v_mov_b32_e32 v5, 0x7f800001
	s_and_saveexec_b64 s[52:53], vcc
	s_cbranch_execz .LBB0_742
; %bb.741:                              ;   in Loop: Header=BB0_475 Depth=2
	v_and_b32_e32 v5, 7, v2
	v_ffbh_u32_e32 v32, v5
	v_min_u32_e32 v37, 32, v32
	v_subrev_u32_e32 v32, 28, v37
	v_lshlrev_b64 v[32:33], v32, v[2:3]
	v_lshrrev_b32_e32 v36, 3, v10
	v_sub_u32_e32 v2, 29, v37
	v_and_b32_e32 v32, 7, v32
	v_cmp_gt_u32_e32 vcc, 8, v10
	v_cndmask_b32_e32 v2, v36, v2, vcc
	v_cndmask_b32_e32 v5, v5, v32, vcc
	v_lshlrev_b32_sdwa v10, v6, v22 dst_sel:DWORD dst_unused:UNUSED_PAD src0_sel:DWORD src1_sel:WORD_1
	v_lshlrev_b32_e32 v5, 20, v5
	v_and_b32_e32 v10, 0x80000000, v10
	v_lshl_add_u32 v2, v2, 23, v46
	v_or3_b32 v5, v10, v2, v5
.LBB0_742:                              ;   in Loop: Header=BB0_475 Depth=2
	s_or_b64 exec, exec, s[52:53]
.LBB0_743:                              ;   in Loop: Header=BB0_475 Depth=2
	s_or_b64 exec, exec, s[50:51]
.LBB0_744:                              ;   in Loop: Header=BB0_475 Depth=2
	s_or_b64 exec, exec, s[48:49]
	v_max_f32_e32 v2, v5, v5
	v_max_f32_e32 v3, v3, v3
	;; [unrolled: 1-line block ×3, first 2 shown]
                                        ; implicit-def: $vgpr10
                                        ; implicit-def: $vgpr2
.LBB0_745:                              ;   in Loop: Header=BB0_475 Depth=2
	s_andn2_saveexec_b64 s[46:47], s[46:47]
	s_cbranch_execz .LBB0_759
; %bb.746:                              ;   in Loop: Header=BB0_475 Depth=2
	v_mov_b32_e32 v5, 0
	v_mov_b32_e32 v3, 0
	s_and_saveexec_b64 s[48:49], s[18:19]
	s_cbranch_execz .LBB0_752
; %bb.747:                              ;   in Loop: Header=BB0_475 Depth=2
	v_cmp_ne_u16_sdwa vcc, v10, s63 src0_sel:BYTE_0 src1_sel:DWORD
	v_bfrev_b32_e32 v3, 1
	s_and_saveexec_b64 s[18:19], vcc
	s_cbranch_execz .LBB0_751
; %bb.748:                              ;   in Loop: Header=BB0_475 Depth=2
	v_bfe_u32 v32, v4, 16, 7
	v_cmp_ne_u32_e32 vcc, s64, v32
	v_mov_b32_e32 v3, 0x7f800001
	s_and_saveexec_b64 s[50:51], vcc
	s_cbranch_execz .LBB0_750
; %bb.749:                              ;   in Loop: Header=BB0_475 Depth=2
	v_and_b32_e32 v3, 7, v10
	v_ffbh_u32_e32 v36, v3
	v_min_u32_e32 v36, 32, v36
	v_subrev_u32_e32 v37, 28, v36
	v_lshlrev_b64 v[48:49], v37, v[10:11]
	v_lshrrev_b32_e32 v33, 3, v32
	v_sub_u32_e32 v36, 29, v36
	v_and_b32_e32 v37, 7, v48
	v_cmp_gt_u32_e32 vcc, 8, v32
	v_cndmask_b32_e32 v32, v33, v36, vcc
	v_cndmask_b32_e32 v3, v3, v37, vcc
	v_lshlrev_b32_e32 v10, 24, v10
	v_lshlrev_b32_e32 v3, 20, v3
	v_and_b32_e32 v10, 0x80000000, v10
	v_lshl_add_u32 v32, v32, 23, v46
	v_or3_b32 v3, v10, v32, v3
.LBB0_750:                              ;   in Loop: Header=BB0_475 Depth=2
	s_or_b64 exec, exec, s[50:51]
.LBB0_751:                              ;   in Loop: Header=BB0_475 Depth=2
	s_or_b64 exec, exec, s[18:19]
.LBB0_752:                              ;   in Loop: Header=BB0_475 Depth=2
	s_or_b64 exec, exec, s[48:49]
	v_and_b32_sdwa v10, v22, s62 dst_sel:DWORD dst_unused:UNUSED_PAD src0_sel:WORD_1 src1_sel:DWORD
	v_cmp_ne_u16_e32 vcc, 0, v10
	s_and_saveexec_b64 s[18:19], vcc
	s_cbranch_execz .LBB0_758
; %bb.753:                              ;   in Loop: Header=BB0_475 Depth=2
	v_cmp_ne_u16_e32 vcc, s63, v10
	v_bfrev_b32_e32 v5, 1
	s_and_saveexec_b64 s[48:49], vcc
	s_cbranch_execz .LBB0_757
; %bb.754:                              ;   in Loop: Header=BB0_475 Depth=2
	v_bfe_u32 v10, v22, 16, 7
	v_cmp_ne_u32_e32 vcc, s64, v10
	v_mov_b32_e32 v5, 0x7f800001
	s_and_saveexec_b64 s[50:51], vcc
	s_cbranch_execz .LBB0_756
; %bb.755:                              ;   in Loop: Header=BB0_475 Depth=2
	v_and_b32_e32 v5, 7, v2
	v_ffbh_u32_e32 v32, v5
	v_min_u32_e32 v37, 32, v32
	v_subrev_u32_e32 v32, 28, v37
	v_lshlrev_b64 v[32:33], v32, v[2:3]
	v_lshrrev_b32_e32 v36, 3, v10
	v_sub_u32_e32 v2, 29, v37
	v_and_b32_e32 v32, 7, v32
	v_cmp_gt_u32_e32 vcc, 8, v10
	v_cndmask_b32_e32 v2, v36, v2, vcc
	v_cndmask_b32_e32 v5, v5, v32, vcc
	v_lshlrev_b32_sdwa v10, v6, v22 dst_sel:DWORD dst_unused:UNUSED_PAD src0_sel:DWORD src1_sel:WORD_1
	v_lshlrev_b32_e32 v5, 20, v5
	v_and_b32_e32 v10, 0x80000000, v10
	v_lshl_add_u32 v2, v2, 23, v46
	v_or3_b32 v5, v10, v2, v5
.LBB0_756:                              ;   in Loop: Header=BB0_475 Depth=2
	s_or_b64 exec, exec, s[50:51]
.LBB0_757:                              ;   in Loop: Header=BB0_475 Depth=2
	s_or_b64 exec, exec, s[48:49]
.LBB0_758:                              ;   in Loop: Header=BB0_475 Depth=2
	s_or_b64 exec, exec, s[18:19]
	v_max_f32_e32 v2, v5, v5
	v_max_f32_e32 v3, v3, v3
	v_min_f32_e32 v33, v3, v2
.LBB0_759:                              ;   in Loop: Header=BB0_475 Depth=2
	s_or_b64 exec, exec, s[46:47]
	v_and_b32_sdwa v5, v33, s63 dst_sel:DWORD dst_unused:UNUSED_PAD src0_sel:BYTE_3 src1_sel:DWORD
	v_and_b32_e32 v48, 0x7f800000, v33
	v_mov_b32_e32 v49, v23
	v_and_b32_e32 v2, 0x7fffff, v33
	v_mov_b32_e32 v3, v23
	v_or_b32_e32 v32, 0x7e, v5
	v_cmp_ne_u64_e32 vcc, s[38:39], v[48:49]
	s_and_saveexec_b64 s[18:19], vcc
	s_xor_b64 s[46:47], exec, s[18:19]
	s_cbranch_execz .LBB0_769
; %bb.760:                              ;   in Loop: Header=BB0_475 Depth=2
	v_and_b32_e32 v48, 0x7fffffff, v33
	v_mov_b32_e32 v49, v23
	v_cmp_gt_u64_e32 vcc, s[40:41], v[48:49]
	s_and_saveexec_b64 s[48:49], vcc
	s_cbranch_execz .LBB0_768
; %bb.761:                              ;   in Loop: Header=BB0_475 Depth=2
	v_cmp_ne_u32_e32 vcc, 0, v33
	v_mov_b32_e32 v32, 0
	s_and_saveexec_b64 s[50:51], vcc
	s_cbranch_execz .LBB0_767
; %bb.762:                              ;   in Loop: Header=BB0_475 Depth=2
	v_bfe_u32 v10, v33, 23, 8
	v_sub_u32_e32 v33, 0x79, v10
	v_cmp_gt_u32_e32 vcc, s65, v10
	v_cndmask_b32_e32 v33, 0, v33, vcc
	v_cmp_eq_u32_e32 vcc, 0, v10
	v_add_u32_e32 v32, 0xffffff81, v10
	v_cndmask_b32_e32 v37, v33, v30, vcc
	v_cndmask_b32_e32 v10, v32, v47, vcc
	v_add_u32_e32 v32, 20, v37
	v_or_b32_e32 v36, 0x800000, v2
	v_lshlrev_b64 v[32:33], v32, -1
	v_cndmask_b32_e32 v2, v36, v2, vcc
	v_not_b32_e32 v32, v32
	v_and_b32_e32 v48, v2, v32
	v_add_u32_e32 v32, 19, v37
	v_lshrrev_b64 v[2:3], v37, v[2:3]
	v_not_b32_e32 v33, v33
	v_lshlrev_b64 v[54:55], v32, 1
	v_lshrrev_b32_e32 v32, 23, v2
	v_and_b32_e32 v49, 0, v33
	v_add3_u32 v33, v37, v10, v32
	v_bfe_u32 v10, v2, 20, 1
	v_add_u32_e32 v10, -1, v10
	v_cmp_eq_u64_e32 vcc, v[48:49], v[54:55]
	v_cndmask_b32_e32 v10, 0, v10, vcc
	v_add_u32_e32 v10, v10, v2
	v_and_b32_e32 v10, 0xfffff, v10
	v_add_co_u32_e32 v2, vcc, v10, v2
	v_add_u32_e32 v32, 6, v33
	v_addc_co_u32_e32 v3, vcc, 0, v3, vcc
	v_cmp_ne_u32_e32 vcc, 0, v32
                                        ; implicit-def: $vgpr10
	s_and_saveexec_b64 s[18:19], vcc
	s_xor_b64 s[18:19], exec, s[18:19]
; %bb.763:                              ;   in Loop: Header=BB0_475 Depth=2
	v_add_u32_e32 v10, 7, v33
	v_cmp_lt_u64_e32 vcc, s[42:43], v[2:3]
	v_cndmask_b32_e32 v10, v32, v10, vcc
	v_cndmask_b32_e64 v32, 0, 1, vcc
	v_lshrrev_b64 v[2:3], v32, v[2:3]
; %bb.764:                              ;   in Loop: Header=BB0_475 Depth=2
	s_andn2_saveexec_b64 s[18:19], s[18:19]
; %bb.765:                              ;   in Loop: Header=BB0_475 Depth=2
	v_bfe_u32 v10, v2, 23, 1
; %bb.766:                              ;   in Loop: Header=BB0_475 Depth=2
	s_or_b64 exec, exec, s[18:19]
	v_lshrrev_b64 v[2:3], 20, v[2:3]
	v_cmp_gt_i32_e32 vcc, 16, v10
	v_cndmask_b32_e32 v3, 0, v3, vcc
	v_cndmask_b32_e32 v2, 7, v2, vcc
	v_cmp_eq_u64_e64 s[18:19], 0, v[2:3]
	v_min_i32_e32 v3, 15, v10
	v_lshlrev_b32_e32 v3, 3, v3
	v_cmp_eq_u32_e32 vcc, 0, v10
	v_and_b32_e32 v3, 0xf8, v3
	v_and_or_b32 v2, v2, 7, v3
	s_and_b64 s[18:19], vcc, s[18:19]
	v_cndmask_b32_e64 v2, v2, 0, s[18:19]
	v_accvgpr_read_b32 v55, a9
	v_or_b32_e32 v32, v2, v5
	v_accvgpr_read_b32 v54, a8
.LBB0_767:                              ;   in Loop: Header=BB0_475 Depth=2
	s_or_b64 exec, exec, s[50:51]
.LBB0_768:                              ;   in Loop: Header=BB0_475 Depth=2
	s_or_b64 exec, exec, s[48:49]
                                        ; implicit-def: $vgpr33
                                        ; implicit-def: $vgpr2_vgpr3
.LBB0_769:                              ;   in Loop: Header=BB0_475 Depth=2
	s_andn2_saveexec_b64 s[18:19], s[46:47]
; %bb.770:                              ;   in Loop: Header=BB0_475 Depth=2
	v_or_b32_sdwa v5, v33, s64 dst_sel:DWORD dst_unused:UNUSED_PAD src0_sel:BYTE_3 src1_sel:DWORD
	v_cmp_eq_u64_e32 vcc, 0, v[2:3]
	v_cndmask_b32_e32 v32, v5, v32, vcc
; %bb.771:                              ;   in Loop: Header=BB0_475 Depth=2
	s_or_b64 exec, exec, s[18:19]
	v_and_b32_e32 v48, 0xff000000, v4
	v_mov_b32_e32 v49, v23
	v_lshrrev_b32_e32 v10, 24, v4
	v_lshrrev_b32_e32 v2, 24, v22
	v_cmp_ne_u64_e32 vcc, 0, v[48:49]
                                        ; implicit-def: $vgpr3
	s_and_saveexec_b64 s[18:19], s[14:15]
	s_xor_b64 s[46:47], exec, s[18:19]
	s_cbranch_execz .LBB0_785
; %bb.772:                              ;   in Loop: Header=BB0_475 Depth=2
	v_mov_b32_e32 v5, 0
	v_mov_b32_e32 v3, 0
	s_and_saveexec_b64 s[48:49], vcc
	s_cbranch_execz .LBB0_778
; %bb.773:                              ;   in Loop: Header=BB0_475 Depth=2
	v_cmp_ne_u32_e64 s[18:19], s63, v10
	v_bfrev_b32_e32 v3, 1
	s_and_saveexec_b64 s[50:51], s[18:19]
	s_cbranch_execz .LBB0_777
; %bb.774:                              ;   in Loop: Header=BB0_475 Depth=2
	v_bfe_u32 v4, v4, 24, 7
	v_cmp_ne_u32_e64 s[18:19], s64, v4
	v_mov_b32_e32 v3, 0x7f800001
	s_and_saveexec_b64 s[52:53], s[18:19]
	s_cbranch_execz .LBB0_776
; %bb.775:                              ;   in Loop: Header=BB0_475 Depth=2
	v_and_b32_e32 v3, 7, v10
	v_ffbh_u32_e32 v36, v3
	v_min_u32_e32 v36, 32, v36
	v_subrev_u32_e32 v37, 28, v36
	v_lshlrev_b64 v[48:49], v37, v[10:11]
	v_lshrrev_b32_e32 v33, 3, v4
	v_sub_u32_e32 v36, 29, v36
	v_and_b32_e32 v37, 7, v48
	v_cmp_gt_u32_e64 s[18:19], 8, v4
	v_cndmask_b32_e64 v4, v33, v36, s[18:19]
	v_cndmask_b32_e64 v3, v3, v37, s[18:19]
	v_lshlrev_b32_e32 v10, 24, v10
	v_lshlrev_b32_e32 v3, 20, v3
	v_and_b32_e32 v10, 0x80000000, v10
	v_lshl_add_u32 v4, v4, 23, v46
	v_or3_b32 v3, v10, v4, v3
.LBB0_776:                              ;   in Loop: Header=BB0_475 Depth=2
	s_or_b64 exec, exec, s[52:53]
.LBB0_777:                              ;   in Loop: Header=BB0_475 Depth=2
	s_or_b64 exec, exec, s[50:51]
.LBB0_778:                              ;   in Loop: Header=BB0_475 Depth=2
	s_or_b64 exec, exec, s[48:49]
	v_cmp_lt_u32_e64 s[18:19], s66, v22
	s_and_saveexec_b64 s[48:49], s[18:19]
	s_cbranch_execz .LBB0_784
; %bb.779:                              ;   in Loop: Header=BB0_475 Depth=2
	v_cmp_ne_u32_sdwa s[18:19], v22, s63 src0_sel:BYTE_3 src1_sel:DWORD
	v_bfrev_b32_e32 v5, 1
	s_and_saveexec_b64 s[50:51], s[18:19]
	s_cbranch_execz .LBB0_783
; %bb.780:                              ;   in Loop: Header=BB0_475 Depth=2
	v_bfe_u32 v4, v22, 24, 7
	v_cmp_ne_u32_e64 s[18:19], s64, v4
	v_mov_b32_e32 v5, 0x7f800001
	s_and_saveexec_b64 s[52:53], s[18:19]
	s_cbranch_execz .LBB0_782
; %bb.781:                              ;   in Loop: Header=BB0_475 Depth=2
	v_and_b32_e32 v5, 7, v2
	v_ffbh_u32_e32 v33, v5
	v_min_u32_e32 v33, 32, v33
	v_subrev_u32_e32 v36, 28, v33
	v_lshlrev_b64 v[48:49], v36, v[2:3]
	v_lshrrev_b32_e32 v10, 3, v4
	v_sub_u32_e32 v2, 29, v33
	v_and_b32_e32 v33, 7, v48
	v_cmp_gt_u32_e64 s[18:19], 8, v4
	v_cndmask_b32_e64 v2, v10, v2, s[18:19]
	v_cndmask_b32_e64 v4, v5, v33, s[18:19]
	v_lshlrev_b32_sdwa v5, v6, v22 dst_sel:DWORD dst_unused:UNUSED_PAD src0_sel:DWORD src1_sel:BYTE_3
	v_lshlrev_b32_e32 v4, 20, v4
	v_and_b32_e32 v5, 0x80000000, v5
	v_lshl_add_u32 v2, v2, 23, v46
	v_or3_b32 v5, v5, v2, v4
.LBB0_782:                              ;   in Loop: Header=BB0_475 Depth=2
	s_or_b64 exec, exec, s[52:53]
.LBB0_783:                              ;   in Loop: Header=BB0_475 Depth=2
	s_or_b64 exec, exec, s[50:51]
.LBB0_784:                              ;   in Loop: Header=BB0_475 Depth=2
	s_or_b64 exec, exec, s[48:49]
	v_max_f32_e32 v2, v5, v5
	v_max_f32_e32 v3, v3, v3
	;; [unrolled: 1-line block ×3, first 2 shown]
                                        ; implicit-def: $vgpr10
                                        ; implicit-def: $vgpr2
                                        ; implicit-def: $vgpr4_vgpr5
.LBB0_785:                              ;   in Loop: Header=BB0_475 Depth=2
	s_andn2_saveexec_b64 s[18:19], s[46:47]
	s_cbranch_execz .LBB0_799
; %bb.786:                              ;   in Loop: Header=BB0_475 Depth=2
	v_mov_b32_e32 v5, 0
	v_mov_b32_e32 v3, 0
	s_and_saveexec_b64 s[46:47], vcc
	s_cbranch_execz .LBB0_792
; %bb.787:                              ;   in Loop: Header=BB0_475 Depth=2
	v_cmp_ne_u32_e32 vcc, s63, v10
	v_bfrev_b32_e32 v3, 1
	s_and_saveexec_b64 s[48:49], vcc
	s_cbranch_execz .LBB0_791
; %bb.788:                              ;   in Loop: Header=BB0_475 Depth=2
	v_bfe_u32 v4, v4, 24, 7
	v_cmp_ne_u32_e32 vcc, s64, v4
	v_mov_b32_e32 v3, 0x7f800001
	s_and_saveexec_b64 s[50:51], vcc
	s_cbranch_execz .LBB0_790
; %bb.789:                              ;   in Loop: Header=BB0_475 Depth=2
	v_and_b32_e32 v3, 7, v10
	v_ffbh_u32_e32 v36, v3
	v_min_u32_e32 v36, 32, v36
	v_subrev_u32_e32 v37, 28, v36
	v_lshlrev_b64 v[48:49], v37, v[10:11]
	v_lshrrev_b32_e32 v33, 3, v4
	v_sub_u32_e32 v36, 29, v36
	v_and_b32_e32 v37, 7, v48
	v_cmp_gt_u32_e32 vcc, 8, v4
	v_cndmask_b32_e32 v4, v33, v36, vcc
	v_cndmask_b32_e32 v3, v3, v37, vcc
	v_lshlrev_b32_e32 v10, 24, v10
	v_lshlrev_b32_e32 v3, 20, v3
	v_and_b32_e32 v10, 0x80000000, v10
	v_lshl_add_u32 v4, v4, 23, v46
	v_or3_b32 v3, v10, v4, v3
.LBB0_790:                              ;   in Loop: Header=BB0_475 Depth=2
	s_or_b64 exec, exec, s[50:51]
.LBB0_791:                              ;   in Loop: Header=BB0_475 Depth=2
	s_or_b64 exec, exec, s[48:49]
.LBB0_792:                              ;   in Loop: Header=BB0_475 Depth=2
	s_or_b64 exec, exec, s[46:47]
	v_cmp_lt_u32_e32 vcc, s66, v22
	s_and_saveexec_b64 s[46:47], vcc
	s_cbranch_execz .LBB0_798
; %bb.793:                              ;   in Loop: Header=BB0_475 Depth=2
	v_cmp_ne_u32_sdwa vcc, v22, s63 src0_sel:BYTE_3 src1_sel:DWORD
	v_bfrev_b32_e32 v5, 1
	s_and_saveexec_b64 s[48:49], vcc
	s_cbranch_execz .LBB0_797
; %bb.794:                              ;   in Loop: Header=BB0_475 Depth=2
	v_bfe_u32 v4, v22, 24, 7
	v_cmp_ne_u32_e32 vcc, s64, v4
	v_mov_b32_e32 v5, 0x7f800001
	s_and_saveexec_b64 s[50:51], vcc
	s_cbranch_execz .LBB0_796
; %bb.795:                              ;   in Loop: Header=BB0_475 Depth=2
	v_and_b32_e32 v5, 7, v2
	v_ffbh_u32_e32 v33, v5
	v_min_u32_e32 v33, 32, v33
	v_subrev_u32_e32 v36, 28, v33
	v_lshlrev_b64 v[48:49], v36, v[2:3]
	v_lshrrev_b32_e32 v10, 3, v4
	v_sub_u32_e32 v2, 29, v33
	v_and_b32_e32 v33, 7, v48
	v_cmp_gt_u32_e32 vcc, 8, v4
	v_cndmask_b32_e32 v2, v10, v2, vcc
	v_cndmask_b32_e32 v4, v5, v33, vcc
	v_lshlrev_b32_sdwa v5, v6, v22 dst_sel:DWORD dst_unused:UNUSED_PAD src0_sel:DWORD src1_sel:BYTE_3
	v_lshlrev_b32_e32 v4, 20, v4
	v_and_b32_e32 v5, 0x80000000, v5
	v_lshl_add_u32 v2, v2, 23, v46
	v_or3_b32 v5, v5, v2, v4
.LBB0_796:                              ;   in Loop: Header=BB0_475 Depth=2
	s_or_b64 exec, exec, s[50:51]
.LBB0_797:                              ;   in Loop: Header=BB0_475 Depth=2
	s_or_b64 exec, exec, s[48:49]
.LBB0_798:                              ;   in Loop: Header=BB0_475 Depth=2
	s_or_b64 exec, exec, s[46:47]
	v_max_f32_e32 v2, v5, v5
	v_max_f32_e32 v3, v3, v3
	v_min_f32_e32 v3, v3, v2
.LBB0_799:                              ;   in Loop: Header=BB0_475 Depth=2
	s_or_b64 exec, exec, s[18:19]
	v_and_b32_sdwa v4, v3, s63 dst_sel:DWORD dst_unused:UNUSED_PAD src0_sel:BYTE_3 src1_sel:DWORD
	v_and_b32_e32 v48, 0x7f800000, v3
	v_mov_b32_e32 v49, v23
	v_and_b32_e32 v22, 0x7fffff, v3
	v_or_b32_e32 v2, 0x7e, v4
	v_cmp_ne_u64_e32 vcc, s[38:39], v[48:49]
	s_and_saveexec_b64 s[18:19], vcc
	s_xor_b64 s[46:47], exec, s[18:19]
	s_cbranch_execz .LBB0_809
; %bb.800:                              ;   in Loop: Header=BB0_475 Depth=2
	v_and_b32_e32 v48, 0x7fffffff, v3
	v_mov_b32_e32 v49, v23
	v_cmp_gt_u64_e32 vcc, s[40:41], v[48:49]
	s_and_saveexec_b64 s[48:49], vcc
	s_cbranch_execz .LBB0_808
; %bb.801:                              ;   in Loop: Header=BB0_475 Depth=2
	v_cmp_ne_u32_e32 vcc, 0, v3
	v_mov_b32_e32 v2, 0
	s_and_saveexec_b64 s[50:51], vcc
	s_cbranch_execz .LBB0_807
; %bb.802:                              ;   in Loop: Header=BB0_475 Depth=2
	v_bfe_u32 v2, v3, 23, 8
	v_sub_u32_e32 v5, 0x79, v2
	v_cmp_gt_u32_e32 vcc, s65, v2
	v_cndmask_b32_e32 v5, 0, v5, vcc
	v_cmp_eq_u32_e32 vcc, 0, v2
	v_or_b32_e32 v10, 0x800000, v22
	v_cndmask_b32_e32 v5, v5, v30, vcc
	v_add_u32_e32 v3, 0xffffff81, v2
	v_cndmask_b32_e32 v22, v10, v22, vcc
	v_add_u32_e32 v2, 20, v5
	v_cndmask_b32_e32 v33, v3, v47, vcc
	v_lshlrev_b64 v[2:3], v2, -1
	v_add_u32_e32 v10, 19, v5
	v_lshrrev_b64 v[54:55], v5, v[22:23]
	v_not_b32_e32 v3, v3
	v_not_b32_e32 v2, v2
	v_lshlrev_b64 v[48:49], v10, 1
	v_lshrrev_b32_e32 v10, 23, v54
	v_and_b32_e32 v3, 0, v3
	v_and_b32_e32 v2, v22, v2
	v_add3_u32 v33, v5, v33, v10
	v_bfe_u32 v5, v54, 20, 1
	v_add_u32_e32 v5, -1, v5
	v_cmp_eq_u64_e32 vcc, v[2:3], v[48:49]
	v_cndmask_b32_e32 v2, 0, v5, vcc
	v_add_u32_e32 v2, v2, v54
	v_and_b32_e32 v2, 0xfffff, v2
	v_add_co_u32_e32 v2, vcc, v2, v54
	v_add_u32_e32 v10, 6, v33
	v_addc_co_u32_e32 v3, vcc, 0, v55, vcc
	v_cmp_ne_u32_e32 vcc, 0, v10
                                        ; implicit-def: $vgpr5
	s_and_saveexec_b64 s[18:19], vcc
	s_xor_b64 s[18:19], exec, s[18:19]
; %bb.803:                              ;   in Loop: Header=BB0_475 Depth=2
	v_add_u32_e32 v5, 7, v33
	v_cmp_lt_u64_e32 vcc, s[42:43], v[2:3]
	v_cndmask_b32_e32 v5, v10, v5, vcc
	v_cndmask_b32_e64 v10, 0, 1, vcc
	v_lshrrev_b64 v[2:3], v10, v[2:3]
; %bb.804:                              ;   in Loop: Header=BB0_475 Depth=2
	s_andn2_saveexec_b64 s[18:19], s[18:19]
; %bb.805:                              ;   in Loop: Header=BB0_475 Depth=2
	v_bfe_u32 v5, v2, 23, 1
; %bb.806:                              ;   in Loop: Header=BB0_475 Depth=2
	s_or_b64 exec, exec, s[18:19]
	v_lshrrev_b64 v[2:3], 20, v[2:3]
	v_cmp_gt_i32_e32 vcc, 16, v5
	v_cndmask_b32_e32 v3, 0, v3, vcc
	v_cndmask_b32_e32 v2, 7, v2, vcc
	v_cmp_eq_u64_e64 s[18:19], 0, v[2:3]
	v_min_i32_e32 v3, 15, v5
	v_lshlrev_b32_e32 v3, 3, v3
	v_cmp_eq_u32_e32 vcc, 0, v5
	v_and_b32_e32 v3, 0xf8, v3
	v_and_or_b32 v2, v2, 7, v3
	s_and_b64 s[18:19], vcc, s[18:19]
	v_cndmask_b32_e64 v2, v2, 0, s[18:19]
	v_accvgpr_read_b32 v55, a9
	v_or_b32_e32 v2, v2, v4
	v_accvgpr_read_b32 v54, a8
.LBB0_807:                              ;   in Loop: Header=BB0_475 Depth=2
	s_or_b64 exec, exec, s[50:51]
.LBB0_808:                              ;   in Loop: Header=BB0_475 Depth=2
	s_or_b64 exec, exec, s[48:49]
                                        ; implicit-def: $vgpr3
.LBB0_809:                              ;   in Loop: Header=BB0_475 Depth=2
	s_andn2_saveexec_b64 s[18:19], s[46:47]
; %bb.810:                              ;   in Loop: Header=BB0_475 Depth=2
	v_or_b32_sdwa v3, v3, s64 dst_sel:DWORD dst_unused:UNUSED_PAD src0_sel:BYTE_3 src1_sel:DWORD
	v_cmp_eq_u64_e32 vcc, 0, v[22:23]
	v_cndmask_b32_e32 v2, v3, v2, vcc
; %bb.811:                              ;   in Loop: Header=BB0_475 Depth=2
	s_or_b64 exec, exec, s[18:19]
	v_lshlrev_b32_e32 v3, 8, v31
	v_lshlrev_b32_e32 v2, 24, v2
	;; [unrolled: 1-line block ×3, first 2 shown]
	v_perm_b32 v3, v3, v24, s67
	v_cmp_lt_u32_e32 vcc, 7, v21
	v_or3_b32 v3, v2, v3, v4
	v_cndmask_b32_e64 v2, 0, 1, vcc
	;;#ASMSTART
	;;#ASMEND
	v_cmp_ne_u32_e64 s[18:19], 0, v2
	s_cmp_lg_u64 s[18:19], exec
	s_mov_b64 s[18:19], -1
	s_cbranch_scc0 .LBB0_821
; %bb.812:                              ;   in Loop: Header=BB0_475 Depth=2
	v_cmp_ne_u32_e64 s[18:19], 1, v21
	flat_store_byte v[0:1], v8
	s_and_saveexec_b64 s[46:47], s[18:19]
	s_cbranch_execnz .LBB0_823
; %bb.813:                              ;   in Loop: Header=BB0_475 Depth=2
	s_or_b64 exec, exec, s[46:47]
	v_cmp_lt_u32_e64 s[18:19], 2, v21
	s_and_saveexec_b64 s[46:47], s[18:19]
	s_cbranch_execnz .LBB0_824
.LBB0_814:                              ;   in Loop: Header=BB0_475 Depth=2
	s_or_b64 exec, exec, s[46:47]
	v_cmp_lt_u32_e64 s[18:19], 3, v21
	s_and_saveexec_b64 s[46:47], s[18:19]
	s_cbranch_execnz .LBB0_825
.LBB0_815:                              ;   in Loop: Header=BB0_475 Depth=2
	s_or_b64 exec, exec, s[46:47]
	v_cmp_lt_u32_e64 s[18:19], 4, v21
	s_and_saveexec_b64 s[46:47], s[18:19]
	s_cbranch_execnz .LBB0_826
.LBB0_816:                              ;   in Loop: Header=BB0_475 Depth=2
	s_or_b64 exec, exec, s[46:47]
	v_cmp_lt_u32_e64 s[18:19], 5, v21
	s_and_saveexec_b64 s[46:47], s[18:19]
	s_cbranch_execnz .LBB0_827
.LBB0_817:                              ;   in Loop: Header=BB0_475 Depth=2
	s_or_b64 exec, exec, s[46:47]
	v_cmp_lt_u32_e64 s[18:19], 6, v21
	s_and_saveexec_b64 s[46:47], s[18:19]
	s_cbranch_execnz .LBB0_828
.LBB0_818:                              ;   in Loop: Header=BB0_475 Depth=2
	s_or_b64 exec, exec, s[46:47]
	s_and_saveexec_b64 s[18:19], vcc
	s_cbranch_execz .LBB0_820
.LBB0_819:                              ;   in Loop: Header=BB0_475 Depth=2
	v_lshrrev_b32_e32 v2, 24, v3
	flat_store_byte v[0:1], v2 offset:7
.LBB0_820:                              ;   in Loop: Header=BB0_475 Depth=2
	s_or_b64 exec, exec, s[18:19]
	s_mov_b64 s[18:19], 0
.LBB0_821:                              ;   in Loop: Header=BB0_475 Depth=2
	s_and_b64 vcc, exec, s[18:19]
	s_cbranch_vccz .LBB0_474
; %bb.822:                              ;   in Loop: Header=BB0_475 Depth=2
	v_perm_b32 v4, v11, v27, s68
	v_lshlrev_b32_e32 v2, 8, v9
	v_perm_b32 v4, v4, v8, s69
	v_and_or_b32 v2, v2, s70, v4
	global_store_dwordx2 v[0:1], v[2:3], off
	s_branch .LBB0_474
.LBB0_823:                              ;   in Loop: Header=BB0_475 Depth=2
	flat_store_byte v[0:1], v9 offset:1
	s_or_b64 exec, exec, s[46:47]
	v_cmp_lt_u32_e64 s[18:19], 2, v21
	s_and_saveexec_b64 s[46:47], s[18:19]
	s_cbranch_execz .LBB0_814
.LBB0_824:                              ;   in Loop: Header=BB0_475 Depth=2
	flat_store_byte v[0:1], v27 offset:2
	s_or_b64 exec, exec, s[46:47]
	v_cmp_lt_u32_e64 s[18:19], 3, v21
	s_and_saveexec_b64 s[46:47], s[18:19]
	s_cbranch_execz .LBB0_815
.LBB0_825:                              ;   in Loop: Header=BB0_475 Depth=2
	flat_store_byte v[0:1], v11 offset:3
	s_or_b64 exec, exec, s[46:47]
	v_cmp_lt_u32_e64 s[18:19], 4, v21
	s_and_saveexec_b64 s[46:47], s[18:19]
	s_cbranch_execz .LBB0_816
.LBB0_826:                              ;   in Loop: Header=BB0_475 Depth=2
	flat_store_byte v[0:1], v24 offset:4
	s_or_b64 exec, exec, s[46:47]
	v_cmp_lt_u32_e64 s[18:19], 5, v21
	s_and_saveexec_b64 s[46:47], s[18:19]
	s_cbranch_execz .LBB0_817
.LBB0_827:                              ;   in Loop: Header=BB0_475 Depth=2
	flat_store_byte v[0:1], v31 offset:5
	s_or_b64 exec, exec, s[46:47]
	v_cmp_lt_u32_e64 s[18:19], 6, v21
	s_and_saveexec_b64 s[46:47], s[18:19]
	s_cbranch_execz .LBB0_818
.LBB0_828:                              ;   in Loop: Header=BB0_475 Depth=2
	flat_store_byte v[0:1], v32 offset:6
	s_or_b64 exec, exec, s[46:47]
	s_and_saveexec_b64 s[18:19], vcc
	s_cbranch_execnz .LBB0_819
	s_branch .LBB0_820
.LBB0_829:                              ;   in Loop: Header=BB0_21 Depth=1
	s_or_b64 exec, exec, s[44:45]
	v_accvgpr_read_b32 v8, a40
	v_accvgpr_read_b32 v9, a41
.LBB0_830:                              ;   in Loop: Header=BB0_21 Depth=1
	s_or_b64 exec, exec, s[20:21]
	v_accvgpr_read_b32 v27, a3
	v_accvgpr_read_b32 v26, a2
	;; [unrolled: 1-line block ×3, first 2 shown]
	s_and_saveexec_b64 s[18:19], s[10:11]
	s_cbranch_execz .LBB0_849
; %bb.831:                              ;   in Loop: Header=BB0_21 Depth=1
	s_and_saveexec_b64 s[20:21], s[30:31]
	s_xor_b64 s[20:21], exec, s[20:21]
	s_cbranch_execz .LBB0_846
; %bb.832:                              ;   in Loop: Header=BB0_21 Depth=1
	s_and_saveexec_b64 s[44:45], s[12:13]
	s_cbranch_execz .LBB0_845
; %bb.833:                              ;   in Loop: Header=BB0_21 Depth=1
	s_mov_b64 s[48:49], exec
	v_mbcnt_lo_u32_b32 v0, s48, 0
	v_mbcnt_hi_u32_b32 v0, s49, v0
	v_cmp_eq_u32_e32 vcc, 0, v0
	s_waitcnt vmcnt(0) lgkmcnt(0)
	buffer_wbinvl1_vol
	s_and_saveexec_b64 s[46:47], vcc
	s_cbranch_execz .LBB0_835
; %bb.834:                              ;   in Loop: Header=BB0_21 Depth=1
	s_bcnt1_i32_b64 vcc_lo, s[48:49]
	v_mov_b32_e32 v22, vcc_lo
	ds_add_u64 v0, v[22:23]
	s_trap 2
.LBB0_835:                              ;   in Loop: Header=BB0_21 Depth=1
	s_or_b64 exec, exec, s[46:47]
	s_trap 2
	ds_read_b64 v[0:1], v0
	v_accvgpr_read_b32 v2, a26
	v_add_co_u32_e32 v42, vcc, v42, v2
	v_accvgpr_read_b32 v3, a27
	v_addc_co_u32_e32 v43, vcc, v43, v3, vcc
	s_waitcnt lgkmcnt(0)
	v_cmp_lt_u64_e32 vcc, v[0:1], v[42:43]
	s_and_saveexec_b64 s[46:47], vcc
	s_cbranch_execz .LBB0_844
; %bb.836:                              ;   in Loop: Header=BB0_21 Depth=1
	s_mov_b32 s58, 0
	s_mov_b64 s[48:49], 0
                                        ; implicit-def: $sgpr50_sgpr51
                                        ; implicit-def: $sgpr52_sgpr53
	s_branch .LBB0_838
.LBB0_837:                              ;   in Loop: Header=BB0_838 Depth=2
	s_or_b64 exec, exec, s[56:57]
	s_and_b64 vcc, exec, vcc
	s_or_b64 s[48:49], vcc, s[48:49]
	s_andn2_b64 vcc, s[50:51], exec
	s_and_b64 s[50:51], s[52:53], exec
	s_or_b64 s[50:51], vcc, s[50:51]
	s_andn2_b64 exec, exec, s[48:49]
	s_cbranch_execz .LBB0_842
.LBB0_838:                              ;   Parent Loop BB0_21 Depth=1
                                        ; =>  This Inner Loop Header: Depth=2
	s_add_i32 s58, s58, 1
	s_cmpk_lg_i32 s58, 0x2710
	s_cselect_b64 s[54:55], -1, 0
	s_and_b64 vcc, exec, s[54:55]
                                        ; implicit-def: $sgpr56_sgpr57
	s_cbranch_vccnz .LBB0_840
; %bb.839:                              ;   in Loop: Header=BB0_838 Depth=2
	s_trap 2
	ds_read_b64 v[0:1], v0
	s_andn2_b64 s[54:55], s[54:55], exec
	s_mov_b32 s58, 0
	s_mov_b64 s[56:57], -1
	s_waitcnt lgkmcnt(0)
	flat_load_dword v0, v[0:1] glc
	s_waitcnt vmcnt(0) lgkmcnt(0)
	buffer_invl2
	buffer_wbinvl1_vol
	v_cmp_eq_u32_e32 vcc, 0, v0
	s_and_b64 vcc, vcc, exec
	s_or_b64 s[54:55], s[54:55], vcc
.LBB0_840:                              ;   in Loop: Header=BB0_838 Depth=2
	s_andn2_b64 s[52:53], s[52:53], exec
	s_and_b64 s[56:57], s[56:57], exec
	s_mov_b64 vcc, -1
	s_or_b64 s[52:53], s[52:53], s[56:57]
	s_and_saveexec_b64 s[56:57], s[54:55]
	s_cbranch_execz .LBB0_837
; %bb.841:                              ;   in Loop: Header=BB0_838 Depth=2
	s_sleep 1
	s_trap 2
	ds_read_b64 v[0:1], v0
	s_andn2_b64 s[52:53], s[52:53], exec
	s_waitcnt lgkmcnt(0)
	v_cmp_ge_u64_e32 vcc, v[0:1], v[42:43]
	s_orn2_b64 vcc, vcc, exec
	s_branch .LBB0_837
.LBB0_842:                              ;   in Loop: Header=BB0_21 Depth=1
	s_or_b64 exec, exec, s[48:49]
	s_and_saveexec_b64 vcc, s[50:51]
	s_xor_b64 vcc, exec, vcc
	s_cbranch_execz .LBB0_844
; %bb.843:                              ;   in Loop: Header=BB0_21 Depth=1
	v_mov_b32_e32 v0, 1
	ds_write_b32 v0, v0
	s_trap 2
.LBB0_844:                              ;   in Loop: Header=BB0_21 Depth=1
	s_or_b64 exec, exec, s[46:47]
	;;#ASMSTART
	s_wakeup
	;;#ASMEND
.LBB0_845:                              ;   in Loop: Header=BB0_21 Depth=1
	s_or_b64 exec, exec, s[44:45]
.LBB0_846:                              ;   in Loop: Header=BB0_21 Depth=1
	s_andn2_saveexec_b64 s[20:21], s[20:21]
	s_cbranch_execz .LBB0_848
; %bb.847:                              ;   in Loop: Header=BB0_21 Depth=1
	s_waitcnt vmcnt(0) lgkmcnt(0)
	buffer_wbinvl1_vol
	s_barrier
.LBB0_848:                              ;   in Loop: Header=BB0_21 Depth=1
	s_or_b64 exec, exec, s[20:21]
.LBB0_849:                              ;   in Loop: Header=BB0_21 Depth=1
	s_or_b64 exec, exec, s[18:19]
	s_and_saveexec_b64 s[18:19], s[16:17]
	s_cbranch_execz .LBB0_20
; %bb.850:                              ;   in Loop: Header=BB0_21 Depth=1
	v_add_co_u32_e32 v38, vcc, 1, v38
	v_accvgpr_read_b32 v0, a20
	v_addc_co_u32_e32 v39, vcc, 0, v39, vcc
	v_accvgpr_read_b32 v1, a21
	flat_store_dwordx2 v[0:1], v[38:39]
	s_branch .LBB0_20
.LBB0_851:
	s_or_b64 exec, exec, s[28:29]
	v_accvgpr_read_b32 v23, a13
	v_accvgpr_read_b32 v29, a15
	;; [unrolled: 1-line block ×6, first 2 shown]
.LBB0_852:
	s_or_b64 exec, exec, s[26:27]
; %bb.853:
	s_and_saveexec_b64 s[6:7], s[24:25]
	s_cbranch_execnz .LBB0_856
; %bb.854:
	s_or_b64 exec, exec, s[6:7]
	s_and_saveexec_b64 s[6:7], s[4:5]
	s_cbranch_execnz .LBB0_857
.LBB0_855:
	s_or_b64 exec, exec, s[6:7]
	v_cmp_ne_u32_e32 vcc, 64, v20
	s_and_saveexec_b64 s[4:5], vcc
	s_cbranch_execnz .LBB0_858
	s_branch .LBB0_875
.LBB0_856:
	s_waitcnt vmcnt(0) lgkmcnt(0)
	flat_store_dwordx2 v[28:29], v[38:39] offset:104
	s_or_b64 exec, exec, s[6:7]
	s_and_saveexec_b64 s[6:7], s[4:5]
	s_cbranch_execz .LBB0_855
.LBB0_857:
	s_waitcnt vmcnt(0) lgkmcnt(0)
	flat_store_dwordx2 v[22:23], v[14:15] offset:104
	s_or_b64 exec, exec, s[6:7]
	v_cmp_ne_u32_e32 vcc, 64, v20
	s_and_saveexec_b64 s[4:5], vcc
	s_cbranch_execz .LBB0_875
.LBB0_858:
	v_cmp_ne_u32_sdwa s[6:7], v9, v20 src0_sel:WORD_0 src1_sel:DWORD
	s_and_saveexec_b64 s[8:9], s[6:7]
	s_xor_b64 s[6:7], exec, s[8:9]
	s_cbranch_execz .LBB0_873
; %bb.859:
	v_and_b32_e32 v0, 63, v31
	v_cmp_eq_u32_e32 vcc, 0, v0
	s_and_saveexec_b64 s[8:9], vcc
	s_cbranch_execz .LBB0_872
; %bb.860:
	s_mov_b64 s[12:13], exec
	v_mbcnt_lo_u32_b32 v0, s12, 0
	v_mbcnt_hi_u32_b32 v0, s13, v0
	v_cmp_eq_u32_e32 vcc, 0, v0
	s_waitcnt vmcnt(0) lgkmcnt(0)
	buffer_wbinvl1_vol
	s_and_saveexec_b64 s[10:11], vcc
	s_cbranch_execz .LBB0_862
; %bb.861:
	s_bcnt1_i32_b64 s12, s[12:13]
	v_mov_b32_e32 v0, s12
	v_mov_b32_e32 v1, 0
	ds_add_u64 v0, v[0:1]
	s_trap 2
.LBB0_862:
	s_or_b64 exec, exec, s[10:11]
	v_ashrrev_i32_e32 v0, 31, v20
	v_lshrrev_b32_e32 v0, 26, v0
	v_add_u32_e32 v0, v20, v0
	v_ashrrev_i32_e32 v0, 6, v0
	s_trap 2
	ds_read_b64 v[2:3], v0
	v_ashrrev_i32_e32 v1, 31, v0
	v_add_co_u32_e32 v0, vcc, v42, v0
	v_addc_co_u32_e32 v1, vcc, v43, v1, vcc
	s_waitcnt lgkmcnt(0)
	v_cmp_lt_u64_e32 vcc, v[2:3], v[0:1]
	s_and_saveexec_b64 s[10:11], vcc
	s_cbranch_execz .LBB0_871
; %bb.863:
	s_mov_b32 s24, 0
	s_mov_b64 s[12:13], 0
                                        ; implicit-def: $sgpr14_sgpr15
                                        ; implicit-def: $sgpr16_sgpr17
	s_branch .LBB0_865
.LBB0_864:                              ;   in Loop: Header=BB0_865 Depth=1
	s_or_b64 exec, exec, s[22:23]
	s_and_b64 s[18:19], exec, s[20:21]
	s_or_b64 s[12:13], s[18:19], s[12:13]
	s_andn2_b64 s[14:15], s[14:15], exec
	s_and_b64 s[18:19], s[16:17], exec
	s_or_b64 s[14:15], s[14:15], s[18:19]
	s_andn2_b64 exec, exec, s[12:13]
	s_cbranch_execz .LBB0_869
.LBB0_865:                              ; =>This Inner Loop Header: Depth=1
	s_add_i32 s24, s24, 1
	s_cmpk_lg_i32 s24, 0x2710
	s_cselect_b64 s[18:19], -1, 0
	s_and_b64 vcc, exec, s[18:19]
                                        ; implicit-def: $sgpr22_sgpr23
	s_cbranch_vccnz .LBB0_867
; %bb.866:                              ;   in Loop: Header=BB0_865 Depth=1
	s_trap 2
	ds_read_b64 v[2:3], v0
	s_andn2_b64 s[18:19], s[18:19], exec
	s_mov_b32 s24, 0
	s_mov_b64 s[22:23], -1
	s_waitcnt lgkmcnt(0)
	flat_load_dword v2, v[2:3] glc
	s_waitcnt vmcnt(0) lgkmcnt(0)
	buffer_invl2
	buffer_wbinvl1_vol
	v_cmp_eq_u32_e32 vcc, 0, v2
	s_and_b64 s[20:21], vcc, exec
	s_or_b64 s[18:19], s[18:19], s[20:21]
.LBB0_867:                              ;   in Loop: Header=BB0_865 Depth=1
	s_andn2_b64 s[16:17], s[16:17], exec
	s_and_b64 s[22:23], s[22:23], exec
	s_mov_b64 s[20:21], -1
	s_or_b64 s[16:17], s[16:17], s[22:23]
	s_and_saveexec_b64 s[22:23], s[18:19]
	s_cbranch_execz .LBB0_864
; %bb.868:                              ;   in Loop: Header=BB0_865 Depth=1
	s_sleep 1
	s_trap 2
	ds_read_b64 v[2:3], v0
	s_andn2_b64 s[16:17], s[16:17], exec
	s_waitcnt lgkmcnt(0)
	v_cmp_ge_u64_e32 vcc, v[2:3], v[0:1]
	s_orn2_b64 s[20:21], vcc, exec
	s_branch .LBB0_864
.LBB0_869:
	s_or_b64 exec, exec, s[12:13]
	s_and_saveexec_b64 s[12:13], s[14:15]
	s_xor_b64 s[12:13], exec, s[12:13]
	s_cbranch_execz .LBB0_871
; %bb.870:
	v_mov_b32_e32 v0, 1
	ds_write_b32 v0, v0
	s_trap 2
.LBB0_871:
	s_or_b64 exec, exec, s[10:11]
	;;#ASMSTART
	s_wakeup
	;;#ASMEND
.LBB0_872:
	s_or_b64 exec, exec, s[8:9]
.LBB0_873:
	s_andn2_saveexec_b64 s[6:7], s[6:7]
	s_cbranch_execz .LBB0_875
; %bb.874:
	s_waitcnt vmcnt(0) lgkmcnt(0)
	buffer_wbinvl1_vol
	s_barrier
.LBB0_875:
	s_or_b64 exec, exec, s[4:5]
	buffer_load_dword a45, off, s[0:3], s32 ; 4-byte Folded Reload
	buffer_load_dword a44, off, s[0:3], s32 offset:4 ; 4-byte Folded Reload
	buffer_load_dword a43, off, s[0:3], s32 offset:8 ; 4-byte Folded Reload
	;; [unrolled: 1-line block ×28, first 2 shown]
	v_readlane_b32 s30, v63, 39
	v_readlane_b32 s31, v63, 40
	;; [unrolled: 1-line block ×41, first 2 shown]
	s_or_saveexec_b64 s[4:5], -1
	buffer_load_dword v63, off, s[0:3], s32 offset:116 ; 4-byte Folded Reload
	s_mov_b64 exec, s[4:5]
	s_waitcnt vmcnt(0) lgkmcnt(0)
	s_setpc_b64 s[30:31]
.Lfunc_end0:
	.size	_ZN12_GLOBAL__N_17runRingI14__hip_fp8_e4m310FuncMinMaxIS1_E7ProtoLLLi0ELi1ELi0EEEviiP15ncclDevWorkColl, .Lfunc_end0-_ZN12_GLOBAL__N_17runRingI14__hip_fp8_e4m310FuncMinMaxIS1_E7ProtoLLLi0ELi1ELi0EEEviiP15ncclDevWorkColl
                                        ; -- End function
	.section	.AMDGPU.csdata,"",@progbits
; Function info:
; codeLenInByte = 27076
; NumSgprs: 77
; NumVgprs: 64
; NumAgprs: 46
; TotalNumVgprs: 110
; ScratchSize: 124
; MemoryBound: 0
	.text
	.p2align	2                               ; -- Begin function _Z53ncclDevFunc_ReduceScatter_RING_LL_MinMax_f8e4m3_0_0_1v
	.type	_Z53ncclDevFunc_ReduceScatter_RING_LL_MinMax_f8e4m3_0_0_1v,@function
_Z53ncclDevFunc_ReduceScatter_RING_LL_MinMax_f8e4m3_0_0_1v: ; @_Z53ncclDevFunc_ReduceScatter_RING_LL_MinMax_f8e4m3_0_0_1v
; %bb.0:
	s_waitcnt vmcnt(0) expcnt(0) lgkmcnt(0)
	s_mov_b32 s4, s33
	s_mov_b32 s33, s32
	s_or_saveexec_b64 s[6:7], -1
	buffer_store_dword v43, off, s[0:3], s33 offset:16 ; 4-byte Folded Spill
	s_mov_b64 exec, s[6:7]
	v_writelane_b32 v43, s4, 49
	s_addk_i32 s32, 0x800
	buffer_store_dword v40, off, s[0:3], s33 offset:12 ; 4-byte Folded Spill
	buffer_store_dword v41, off, s[0:3], s33 offset:8 ; 4-byte Folded Spill
	;; [unrolled: 1-line block ×3, first 2 shown]
	buffer_store_dword v63, off, s[0:3], s33 ; 4-byte Folded Spill
	v_writelane_b32 v43, s34, 0
	v_writelane_b32 v43, s35, 1
	;; [unrolled: 1-line block ×49, first 2 shown]
	s_trap 2
	ds_read_b32 v0, v0
	v_mov_b32_e32 v40, v31
	v_and_b32_e32 v41, 0x3ff, v40
	s_mov_b32 s73, s12
	s_mov_b64 s[74:75], s[8:9]
	s_waitcnt lgkmcnt(0)
	v_cmp_lt_i32_e32 vcc, v41, v0
	s_and_saveexec_b64 s[4:5], vcc
	s_cbranch_execz .LBB1_5
; %bb.1:
	s_load_dword s6, s[74:75], 0x0
	v_mov_b32_e32 v1, 0
	s_mov_b32 s10, 0
	v_mov_b32_e32 v4, v41
                                        ; implicit-def: $vgpr2
	s_waitcnt lgkmcnt(0)
	s_cmp_lt_u32 s73, s6
	s_cselect_b32 s6, 12, 18
	s_add_u32 s6, s74, s6
	s_addc_u32 s7, s75, 0
	global_load_ushort v1, v1, s[6:7]
	s_trap 2
	ds_read_b32 v3, v0
	s_mov_b64 s[6:7], 0
	s_waitcnt vmcnt(0) lgkmcnt(0)
	v_mul_lo_u32 v3, v3, v1
	s_branch .LBB1_3
.LBB1_2:                                ;   in Loop: Header=BB1_3 Depth=1
	s_or_b64 exec, exec, s[8:9]
	v_add_u32_e32 v4, v4, v1
	v_cmp_ge_i32_e32 vcc, v4, v0
	s_or_b64 s[6:7], vcc, s[6:7]
	v_add_u32_e32 v2, v2, v3
	s_andn2_b64 exec, exec, s[6:7]
	s_cbranch_execz .LBB1_5
.LBB1_3:                                ; =>This Inner Loop Header: Depth=1
	ds_read_b32 v5, v2
	s_waitcnt lgkmcnt(0)
	v_and_b32_e32 v5, 0x1000000, v5
	v_cmp_ne_u32_e32 vcc, 0, v5
	s_and_saveexec_b64 s[8:9], vcc
	s_cbranch_execz .LBB1_2
; %bb.4:                                ;   in Loop: Header=BB1_3 Depth=1
	ds_read_b64 v[6:7], v2 offset:104
	s_waitcnt lgkmcnt(0)
	flat_load_ubyte v5, v[6:7]
	v_mov_b32_e32 v7, s10
	s_waitcnt vmcnt(0) lgkmcnt(0)
	v_and_b32_e32 v6, 0xffff, v5
	ds_write_b64 v2, v[6:7] offset:104
	s_branch .LBB1_2
.LBB1_5:
	s_or_b64 exec, exec, s[4:5]
	s_waitcnt lgkmcnt(0)
	s_barrier
	s_trap 2
	ds_read_b32 v0, v0
	s_waitcnt lgkmcnt(0)
	v_cmp_gt_i32_e32 vcc, 1, v0
	s_cbranch_vccnz .LBB1_13
; %bb.6:
	s_mov_b32 s80, 0
	s_mov_b64 s[76:77], src_shared_base
	v_mov_b32_e32 v42, 6
	s_branch .LBB1_8
.LBB1_7:                                ;   in Loop: Header=BB1_8 Depth=1
	s_or_b64 exec, exec, s[78:79]
	s_trap 2
	ds_read_b32 v0, v0
	s_add_i32 s80, s80, 1
	s_waitcnt lgkmcnt(0)
	v_cmp_lt_i32_e32 vcc, s80, v0
	s_cbranch_vccz .LBB1_13
.LBB1_8:                                ; =>This Inner Loop Header: Depth=1
	s_trap 2
	ds_read_b32 v0, v0
	s_cmp_eq_u32 s80, 0
	s_cbranch_scc1 .LBB1_11
; %bb.9:                                ;   in Loop: Header=BB1_8 Depth=1
	s_trap 2
	s_waitcnt lgkmcnt(0)
	ds_read_b32 v1, v0
	s_waitcnt lgkmcnt(0)
	v_xor_b32_e32 v1, v1, v0
	v_and_b32_e32 v1, 0xff0000, v1
	v_cmp_eq_u32_e32 vcc, 0, v1
	s_cbranch_vccnz .LBB1_11
; %bb.10:                               ;   in Loop: Header=BB1_8 Depth=1
	s_barrier
	ds_read_b32 v0, v0
.LBB1_11:                               ;   in Loop: Header=BB1_8 Depth=1
	s_waitcnt lgkmcnt(0)
	v_lshlrev_b32_sdwa v1, v42, v0 dst_sel:DWORD dst_unused:UNUSED_PAD src0_sel:DWORD src1_sel:BYTE_2
	v_cmp_lt_u32_e32 vcc, v41, v1
	s_and_saveexec_b64 s[78:79], vcc
	s_cbranch_execz .LBB1_7
; %bb.12:                               ;   in Loop: Header=BB1_8 Depth=1
	s_mov_b64 s[8:9], s[74:75]
	s_mov_b32 s12, s73
	v_mov_b32_e32 v31, v40
	v_mov_b32_e32 v0, v41
	;; [unrolled: 1-line block ×3, first 2 shown]
	s_getpc_b64 s[4:5]
	s_add_u32 s4, s4, _ZN12_GLOBAL__N_17runRingI14__hip_fp8_e4m310FuncMinMaxIS1_E7ProtoLLLi0ELi1ELi0EEEviiP15ncclDevWorkColl@rel32@lo+4
	s_addc_u32 s5, s5, _ZN12_GLOBAL__N_17runRingI14__hip_fp8_e4m310FuncMinMaxIS1_E7ProtoLLLi0ELi1ELi0EEEviiP15ncclDevWorkColl@rel32@hi+12
	s_swappc_b64 s[30:31], s[4:5]
	s_branch .LBB1_7
.LBB1_13:
	buffer_load_dword v63, off, s[0:3], s33 ; 4-byte Folded Reload
	buffer_load_dword v42, off, s[0:3], s33 offset:4 ; 4-byte Folded Reload
	buffer_load_dword v41, off, s[0:3], s33 offset:8 ; 4-byte Folded Reload
	;; [unrolled: 1-line block ×3, first 2 shown]
	v_readlane_b32 s30, v43, 47
	v_readlane_b32 s31, v43, 48
	;; [unrolled: 1-line block ×50, first 2 shown]
	s_or_saveexec_b64 s[6:7], -1
	buffer_load_dword v43, off, s[0:3], s33 offset:16 ; 4-byte Folded Reload
	s_mov_b64 exec, s[6:7]
	s_addk_i32 s32, 0xf800
	s_mov_b32 s33, s4
	s_waitcnt vmcnt(0)
	s_setpc_b64 s[30:31]
.Lfunc_end1:
	.size	_Z53ncclDevFunc_ReduceScatter_RING_LL_MinMax_f8e4m3_0_0_1v, .Lfunc_end1-_Z53ncclDevFunc_ReduceScatter_RING_LL_MinMax_f8e4m3_0_0_1v
                                        ; -- End function
	.section	.AMDGPU.csdata,"",@progbits
; Function info:
; codeLenInByte = 1392
; NumSgprs: 85
; NumVgprs: 64
; NumAgprs: 46
; TotalNumVgprs: 110
; ScratchSize: 156
; MemoryBound: 0
	.text
	.p2align	2                               ; -- Begin function _ZN12_GLOBAL__N_17runRingI14__hip_fp8_e4m310FuncMinMaxIS1_E7ProtoLLLi0ELi2ELi0EEEviiP15ncclDevWorkColl
	.type	_ZN12_GLOBAL__N_17runRingI14__hip_fp8_e4m310FuncMinMaxIS1_E7ProtoLLLi0ELi2ELi0EEEviiP15ncclDevWorkColl,@function
_ZN12_GLOBAL__N_17runRingI14__hip_fp8_e4m310FuncMinMaxIS1_E7ProtoLLLi0ELi2ELi0EEEviiP15ncclDevWorkColl: ; @_ZN12_GLOBAL__N_17runRingI14__hip_fp8_e4m310FuncMinMaxIS1_E7ProtoLLLi0ELi2ELi0EEEviiP15ncclDevWorkColl
; %bb.0:
	s_waitcnt vmcnt(0) expcnt(0) lgkmcnt(0)
	s_or_saveexec_b64 s[4:5], -1
	buffer_store_dword v63, off, s[0:3], s32 offset:116 ; 4-byte Folded Spill
	s_mov_b64 exec, s[4:5]
	buffer_store_dword v40, off, s[0:3], s32 offset:112 ; 4-byte Folded Spill
	buffer_store_dword v41, off, s[0:3], s32 offset:108 ; 4-byte Folded Spill
	;; [unrolled: 1-line block ×28, first 2 shown]
	buffer_store_dword a45, off, s[0:3], s32 ; 4-byte Folded Spill
	v_writelane_b32 v63, s34, 0
	v_writelane_b32 v63, s35, 1
	;; [unrolled: 1-line block ×41, first 2 shown]
	v_mov_b32_e32 v20, v1
	v_mov_b32_e32 v44, v0
	s_trap 2
	flat_load_dword v7, v[2:3]
	flat_load_dwordx4 v[24:27], v[2:3] offset:72
	flat_load_dwordx2 v[0:1], v[2:3] offset:88
                                        ; implicit-def: $agpr6_agpr7
	s_waitcnt vmcnt(0) lgkmcnt(0)
	ds_read_b32 v5, v0
	ds_read_b64 a[4:5], v0
	v_not_b32_sdwa v6, v7 dst_sel:DWORD dst_unused:UNUSED_PAD src0_sel:BYTE_0
	v_add_u32_sdwa v4, v7, v6 dst_sel:DWORD dst_unused:UNUSED_PAD src0_sel:BYTE_1 src1_sel:DWORD
	v_ashrrev_i32_e32 v10, 31, v4
	v_mul_lo_u32 v11, v27, v4
	v_mad_u64_u32 v[8:9], s[4:5], v26, v4, 0
	v_mul_lo_u32 v4, v26, v10
	s_waitcnt lgkmcnt(1)
	v_readfirstlane_b32 s22, v5
	v_add3_u32 v4, v9, v4, v11
	v_cmp_ne_u32_sdwa s[4:5], v7, v5 src0_sel:BYTE_0 src1_sel:DWORD
                                        ; implicit-def: $vgpr10_vgpr11
	s_and_saveexec_b64 s[6:7], s[4:5]
	s_xor_b64 s[4:5], exec, s[6:7]
	s_cbranch_execz .LBB2_6
; %bb.1:
	v_cmp_ne_u32_sdwa s[6:7], v7, v5 src0_sel:BYTE_1 src1_sel:DWORD
                                        ; implicit-def: $vgpr10_vgpr11
                                        ; implicit-def: $agpr6_agpr7
	s_and_saveexec_b64 s[10:11], s[6:7]
	s_xor_b64 s[6:7], exec, s[10:11]
	s_cbranch_execz .LBB2_3
; %bb.2:
	flat_load_dwordx2 v[10:11], v[2:3] offset:96
	v_add_u32_e32 v5, v5, v6
	v_ashrrev_i32_e32 v6, 31, v5
	v_mul_lo_u32 v6, v26, v6
	v_mul_lo_u32 v7, v27, v5
	v_mad_u64_u32 v[12:13], s[10:11], v26, v5, v[24:25]
	v_add3_u32 v13, v7, v13, v6
	v_accvgpr_write_b32 a6, v12
	v_accvgpr_write_b32 a7, v13
	s_waitcnt vmcnt(0) lgkmcnt(0)
	v_lshrrev_b64 v[10:11], 17, v[10:11]
.LBB2_3:
	s_andn2_saveexec_b64 s[6:7], s[6:7]
	s_cbranch_execz .LBB2_5
; %bb.4:
	flat_load_dword v5, v[2:3] offset:100
	v_add_co_u32_e32 v6, vcc, v8, v24
	v_addc_co_u32_e32 v7, vcc, v4, v25, vcc
	v_accvgpr_write_b32 a6, v6
	v_accvgpr_write_b32 a7, v7
	v_pk_mov_b32 v[26:27], v[0:1], v[0:1] op_sel:[0,1]
	s_waitcnt vmcnt(0) lgkmcnt(0)
	v_lshrrev_b32_e32 v10, 6, v5
.LBB2_5:
	s_or_b64 exec, exec, s[6:7]
.LBB2_6:
	s_andn2_saveexec_b64 s[4:5], s[4:5]
	s_cbranch_execz .LBB2_8
; %bb.7:
	flat_load_dwordx2 v[6:7], v[2:3] offset:96
	v_pk_mov_b32 v[10:11], 0, 0
	v_accvgpr_write_b32 a6, v10
	v_accvgpr_write_b32 a7, v11
	v_pk_mov_b32 v[26:27], v[24:25], v[24:25] op_sel:[0,1]
	s_waitcnt vmcnt(0) lgkmcnt(0)
	v_lshlrev_b64 v[10:11], 4, v[6:7]
.LBB2_8:
	s_or_b64 exec, exec, s[4:5]
	s_load_dword s4, s[8:9], 0x0
	flat_load_dwordx2 v[18:19], v[2:3] offset:104
	flat_load_ushort v7, v[2:3] offset:8
	flat_load_dword v6, v[2:3] offset:4
	flat_load_dwordx4 a[8:11], v[2:3] offset:16
	v_mov_b32_e32 v3, 0
	v_and_b32_e32 v5, 63, v44
	s_waitcnt lgkmcnt(0)
	s_cmp_lt_u32 s12, s4
	s_cselect_b32 s4, 12, 18
	s_add_u32 s4, s8, s4
	s_addc_u32 s5, s9, 0
	global_load_ushort v9, v3, s[4:5]
	s_trap 2
	ds_read_b32 v2, v0
	s_mov_b32 s6, 0
	v_pk_mov_b32 v[22:23], 0, 0
	v_cmp_eq_u32_e64 s[4:5], 0, v5
	s_waitcnt lgkmcnt(0)
	v_cmp_gt_i32_e32 vcc, 0, v2
	v_readfirstlane_b32 s8, v2
	s_waitcnt vmcnt(0)
	v_lshrrev_b64 v[6:7], 31, v[6:7]
	v_and_b32_e32 v6, 3, v6
	s_cbranch_vccnz .LBB2_10
; %bb.9:
	s_trap 2
	ds_read_b64 v[12:13], v0
	v_lshlrev_b64 v[2:3], 3, v[2:3]
	v_and_b32_e32 v7, 0xffff, v6
	s_movk_i32 s6, 0xa8
	s_waitcnt lgkmcnt(0)
	v_add_co_u32_e32 v2, vcc, v12, v2
	v_addc_co_u32_e32 v3, vcc, v13, v3, vcc
	flat_load_dwordx2 v[2:3], v[2:3]
	s_waitcnt vmcnt(0) lgkmcnt(0)
	v_mad_u64_u32 v[2:3], s[6:7], v7, s6, v[2:3]
	flat_load_dwordx2 a[16:17], v[2:3] offset:504
	flat_load_dwordx2 v[34:35], v[2:3] offset:608
	v_add_co_u32_e32 v2, vcc, 0x1f8, v2
	v_addc_co_u32_e32 v3, vcc, 0, v3, vcc
	v_cndmask_b32_e64 v29, 0, v3, s[4:5]
	v_cndmask_b32_e64 v28, 0, v2, s[4:5]
	s_mov_b32 s6, 1
	s_branch .LBB2_11
.LBB2_10:
	v_pk_mov_b32 v[28:29], v[22:23], v[22:23] op_sel:[0,1]
                                        ; implicit-def: $vgpr34_vgpr35
                                        ; implicit-def: $agpr16_agpr17
.LBB2_11:
	s_trap 2
	ds_read_b32 v2, v0
	s_waitcnt lgkmcnt(0)
	v_cmp_gt_i32_e32 vcc, 0, v2
	s_cbranch_vccnz .LBB2_13
; %bb.12:
	s_trap 2
	ds_read_b64 v[12:13], v0
	v_mov_b32_e32 v3, 0
	v_lshlrev_b64 v[2:3], 3, v[2:3]
	v_and_b32_e32 v6, 0xffff, v6
	s_movk_i32 s4, 0xa8
	s_waitcnt lgkmcnt(0)
	v_add_co_u32_e32 v2, vcc, v12, v2
	v_addc_co_u32_e32 v3, vcc, v13, v3, vcc
	flat_load_dwordx2 v[2:3], v[2:3]
	v_cmp_eq_u32_e32 vcc, 0, v5
	s_waitcnt vmcnt(0) lgkmcnt(0)
	v_mad_u64_u32 v[2:3], s[4:5], v6, s4, v[2:3]
	flat_load_dwordx2 a[18:19], v[2:3]
	flat_load_dwordx2 v[16:17], v[2:3] offset:104
	v_cndmask_b32_e32 v23, 0, v3, vcc
	v_cndmask_b32_e32 v22, 0, v2, vcc
	s_branch .LBB2_14
.LBB2_13:
                                        ; implicit-def: $vgpr16_vgpr17
                                        ; implicit-def: $agpr18_agpr19
.LBB2_14:
	v_subrev_u32_e32 v2, 64, v20
	v_pk_mov_b32 v[12:13], 0, 0
	v_cmp_le_i32_e32 vcc, v2, v44
	v_cmp_gt_u32_e64 s[4:5], s6, v5
	v_accvgpr_write_b32 a21, v13
	s_and_b64 s[24:25], vcc, s[4:5]
	v_accvgpr_write_b32 a20, v12
                                        ; implicit-def: $vgpr38_vgpr39
	s_and_saveexec_b64 s[4:5], s[24:25]
	s_cbranch_execz .LBB2_16
; %bb.15:
	flat_load_dwordx2 a[20:21], v[28:29] offset:56
	flat_load_dwordx2 v[38:39], v[28:29] offset:104
.LBB2_16:
	s_or_b64 exec, exec, s[4:5]
	v_cmp_gt_i32_e64 s[4:5], s6, v44
	v_pk_mov_b32 v[50:51], v[12:13], v[12:13] op_sel:[0,1]
                                        ; implicit-def: $vgpr52_vgpr53
	s_and_saveexec_b64 s[6:7], s[4:5]
	s_cbranch_execz .LBB2_18
; %bb.17:
	flat_load_dwordx2 v[50:51], v[22:23] offset:56
	s_waitcnt vmcnt(0) lgkmcnt(0)
	flat_load_dwordx2 v[52:53], v[50:51] glc
	s_waitcnt vmcnt(0)
	flat_load_dwordx4 v[12:15], v[22:23] offset:96
.LBB2_18:
	s_or_b64 exec, exec, s[6:7]
	v_cmp_ne_u64_e32 vcc, 0, v[26:27]
	v_pk_mov_b32 v[42:43], 0, 0
	s_and_saveexec_b64 s[26:27], vcc
	s_cbranch_execz .LBB2_852
; %bb.19:
	v_add_co_u32_e32 v0, vcc, v0, v24
	s_ashr_i32 s6, s8, 31
	v_addc_co_u32_e32 v1, vcc, v1, v25, vcc
	s_lshr_b32 s6, s6, 29
	v_add_co_u32_e32 v0, vcc, v0, v8
	s_ashr_i32 s23, s22, 31
	s_add_i32 s8, s8, s6
	v_accvgpr_write_b32 a22, v0
	v_addc_co_u32_e32 v0, vcc, v1, v4, vcc
	s_lshl_b64 s[6:7], s[22:23], 2
	v_accvgpr_read_b32 v2, a4
	v_accvgpr_write_b32 a23, v0
	v_mov_b32_e32 v0, s7
	v_accvgpr_read_b32 v3, a5
	v_add_co_u32_e32 v1, vcc, s6, v2
	v_addc_co_u32_e32 v0, vcc, v3, v0, vcc
	v_add_co_u32_e32 v2, vcc, -4, v1
	v_addc_co_u32_e32 v3, vcc, -1, v0, vcc
	v_and_b32_e32 v0, 63, v31
	v_ashrrev_i32_e32 v21, 31, v20
	v_cmp_eq_u32_e64 s[12:13], 0, v0
	v_lshrrev_b32_e32 v0, 26, v21
	v_accvgpr_write_b32 a25, v3
	v_add_u32_e32 v0, v20, v0
	v_accvgpr_write_b32 a24, v2
	v_ashrrev_i32_e32 v0, 6, v0
	v_accvgpr_read_b32 v2, a8
	v_accvgpr_write_b32 a26, v0
	v_ashrrev_i32_e32 v1, 31, v0
	v_lshlrev_b32_e32 v6, 3, v44
	v_accvgpr_read_b32 v4, a10
	v_and_b32_e32 v0, 1, v18
	v_accvgpr_write_b32 a27, v1
	v_ashrrev_i32_e32 v7, 31, v6
	v_accvgpr_read_b32 v5, a11
	v_add_co_u32_e32 v4, vcc, v4, v6
	v_cmp_eq_u32_e64 s[14:15], 1, v0
	s_waitcnt vmcnt(0) lgkmcnt(0)
	v_accvgpr_read_b32 v0, a20
	v_addc_co_u32_e32 v5, vcc, v5, v7, vcc
	v_accvgpr_read_b32 v1, a21
	v_accvgpr_read_b32 v3, a9
	v_cmp_ne_u64_e64 s[16:17], 0, v[0:1]
	v_add_co_u32_e32 v0, vcc, v2, v6
	v_accvgpr_write_b32 a32, v0
	v_addc_co_u32_e32 v0, vcc, v3, v7, vcc
	v_accvgpr_write_b32 a33, v0
	v_accvgpr_read_b32 v0, a6
	v_accvgpr_read_b32 v1, a7
	v_add_co_u32_e32 v0, vcc, v4, v0
	v_addc_co_u32_e32 v1, vcc, v5, v1, vcc
	v_accvgpr_write_b32 a35, v1
	v_ashrrev_i32_e32 v45, 31, v44
	v_accvgpr_write_b32 a12, v22
	s_ashr_i32 s10, s8, 3
	v_accvgpr_write_b32 a34, v0
	v_lshlrev_b64 v[0:1], 4, v[44:45]
	v_accvgpr_read_b32 v2, a18
	v_accvgpr_write_b32 a13, v23
	v_and_b32_e32 v54, 0x1fffff0, v10
	v_mov_b32_e32 v23, 0
	s_ashr_i32 s60, s8, 7
	s_and_b32 s23, s10, -16
	v_accvgpr_read_b32 v3, a19
	v_add_co_u32_e32 v0, vcc, v2, v0
	v_accvgpr_write_b32 a14, v28
	v_mov_b32_e32 v55, v23
	v_accvgpr_write_b32 a1, v9
	v_cmp_ne_u32_sdwa s[30:31], v9, v20 src0_sel:WORD_0 src1_sel:DWORD
	v_lshlrev_b32_e32 v56, 3, v20
	s_cmp_gt_i32 s22, 2
	v_accvgpr_write_b32 a37, v0
	v_addc_co_u32_e32 v0, vcc, v3, v1, vcc
	v_pk_mov_b32 v[8:9], 0, 0
	v_accvgpr_write_b32 a2, v26
	v_accvgpr_write_b32 a8, v54
	;; [unrolled: 1-line block ×3, first 2 shown]
	s_mov_b64 s[28:29], 0
	v_cmp_ne_u64_e64 s[6:7], 0, v[50:51]
	v_cmp_ne_u64_e64 s[8:9], 0, v[12:13]
	v_cmp_ne_u32_e64 s[10:11], 64, v20
	v_accvgpr_write_b32 a0, v31
	s_cselect_b64 s[34:35], -1, 0
	v_accvgpr_write_b32 a28, v6
	v_accvgpr_write_b32 a29, v7
	;; [unrolled: 1-line block ×4, first 2 shown]
	v_lshlrev_b32_e32 v29, 6, v20
	v_accvgpr_write_b32 a38, v0
	s_movk_i32 s61, 0x2710
	s_mov_b64 s[36:37], 0x7ffffff8
	s_movk_i32 s62, 0xff
	s_movk_i32 s63, 0x80
	;; [unrolled: 1-line block ×3, first 2 shown]
	s_mov_b64 s[38:39], 0x7f800000
	s_mov_b64 s[40:41], 0x43e00001
	s_movk_i32 s65, 0x7a
	s_mov_b64 s[42:43], 0xffffff
	s_mov_b32 s66, 0xffffff
	s_mov_b32 s67, 0xc0c0500
	;; [unrolled: 1-line block ×5, first 2 shown]
	v_bfrev_b32_e32 v46, 60
	v_mov_b32_e32 v47, 0xffffff82
	v_mov_b32_e32 v30, 0x78
	;; [unrolled: 1-line block ×4, first 2 shown]
	v_ashrrev_i32_e32 v45, 31, v56
	v_lshlrev_b64 v[58:59], 4, v[20:21]
	v_pk_mov_b32 v[42:43], v[8:9], v[8:9] op_sel:[0,1]
	v_accvgpr_write_b32 a3, v27
	v_accvgpr_write_b32 a9, v55
	s_branch .LBB2_21
.LBB2_20:                               ;   in Loop: Header=BB2_21 Depth=1
	s_or_b64 exec, exec, s[18:19]
	v_add_co_u32_e32 v34, vcc, 1, v34
	v_addc_co_u32_e32 v35, vcc, 0, v35, vcc
	v_add_co_u32_e32 v8, vcc, v8, v54
	v_addc_co_u32_e32 v9, vcc, 0, v9, vcc
	v_cmp_ge_u64_e32 vcc, v[8:9], v[26:27]
	v_accvgpr_read_b32 v0, a34
	s_or_b64 s[28:29], vcc, s[28:29]
	v_accvgpr_read_b32 v1, a35
	v_add_co_u32_e32 v0, vcc, v0, v54
	v_addc_co_u32_e32 v1, vcc, 0, v1, vcc
	v_accvgpr_write_b32 a35, v1
	v_accvgpr_write_b32 a34, v0
	s_andn2_b64 exec, exec, s[28:29]
	s_cbranch_execz .LBB2_851
.LBB2_21:                               ; =>This Loop Header: Depth=1
                                        ;     Child Loop BB2_28 Depth 2
                                        ;     Child Loop BB2_45 Depth 2
	;; [unrolled: 1-line block ×5, first 2 shown]
                                        ;       Child Loop BB2_85 Depth 3
                                        ;       Child Loop BB2_101 Depth 3
	;; [unrolled: 1-line block ×3, first 2 shown]
                                        ;         Child Loop BB2_122 Depth 4
                                        ;       Child Loop BB2_458 Depth 3
                                        ;       Child Loop BB2_78 Depth 3
                                        ;     Child Loop BB2_475 Depth 2
                                        ;       Child Loop BB2_483 Depth 3
                                        ;     Child Loop BB2_838 Depth 2
	v_accvgpr_read_b32 v0, a24
	v_accvgpr_read_b32 v1, a25
	s_waitcnt vmcnt(0) lgkmcnt(0)
	flat_load_dword v2, v[0:1]
	v_sub_co_u32_e32 v0, vcc, v26, v8
	v_subb_co_u32_e32 v1, vcc, v27, v9, vcc
	v_cmp_lt_u64_e32 vcc, v[54:55], v[0:1]
	v_cndmask_b32_e32 v3, v0, v54, vcc
	v_lshl_add_u32 v0, v3, 1, 14
	v_and_b32_e32 v0, 0x7fffff0, v0
	v_accvgpr_write_b32 a39, v0
	s_mov_b64 s[18:19], exec
	v_accvgpr_write_b32 a41, v9
	s_and_b64 s[20:21], s[18:19], s[6:7]
	v_accvgpr_write_b32 a40, v8
	s_mov_b64 exec, s[20:21]
	s_cbranch_execz .LBB2_37
; %bb.22:                               ;   in Loop: Header=BB2_21 Depth=1
	v_add_co_u32_e32 v0, vcc, 1, v14
	v_addc_co_u32_e32 v1, vcc, 0, v15, vcc
	v_add_co_u32_e32 v4, vcc, 8, v52
	v_addc_co_u32_e32 v5, vcc, 0, v53, vcc
	v_cmp_lt_u64_e32 vcc, v[4:5], v[0:1]
	s_and_saveexec_b64 s[20:21], vcc
	s_cbranch_execz .LBB2_34
; %bb.23:                               ;   in Loop: Header=BB2_21 Depth=1
	s_sleep 1
	flat_load_dwordx2 v[52:53], v[50:51] glc
	v_cmp_eq_u32_e32 vcc, 0, v7
	s_and_saveexec_b64 s[44:45], vcc
	s_cbranch_execz .LBB2_33
; %bb.24:                               ;   in Loop: Header=BB2_21 Depth=1
	v_cndmask_b32_e64 v4, 0, 1, vcc
	s_mov_b64 s[46:47], 0
                                        ; implicit-def: $sgpr48_sgpr49
	s_branch .LBB2_28
.LBB2_25:                               ;   in Loop: Header=BB2_28 Depth=2
	s_or_b64 exec, exec, s[56:57]
	s_orn2_b64 s[54:55], s[54:55], exec
.LBB2_26:                               ;   in Loop: Header=BB2_28 Depth=2
	s_or_b64 exec, exec, s[52:53]
	s_xor_b64 vcc, s[54:55], -1
	s_andn2_b64 s[48:49], s[48:49], exec
	s_and_b64 vcc, vcc, exec
	s_or_b64 s[48:49], s[48:49], vcc
.LBB2_27:                               ;   in Loop: Header=BB2_28 Depth=2
	s_or_b64 exec, exec, s[50:51]
	s_and_b64 vcc, exec, s[48:49]
	s_or_b64 s[46:47], vcc, s[46:47]
	s_andn2_b64 exec, exec, s[46:47]
	s_cbranch_execz .LBB2_32
.LBB2_28:                               ;   Parent Loop BB2_21 Depth=1
                                        ; =>  This Inner Loop Header: Depth=2
	s_waitcnt vmcnt(0) lgkmcnt(0)
	v_add_co_u32_e32 v8, vcc, 8, v52
	v_addc_co_u32_e32 v9, vcc, 0, v53, vcc
	v_cmp_lt_u64_e32 vcc, v[8:9], v[0:1]
	v_mov_b32_e32 v7, 0
	s_or_b64 s[48:49], s[48:49], exec
	s_and_saveexec_b64 s[50:51], vcc
	s_cbranch_execz .LBB2_27
; %bb.29:                               ;   in Loop: Header=BB2_28 Depth=2
	s_sleep 1
	flat_load_dwordx2 v[52:53], v[50:51] glc
	v_add_u32_e32 v4, 1, v4
	v_cmp_eq_u32_e32 vcc, s61, v4
	s_mov_b64 s[54:55], -1
	v_mov_b32_e32 v7, 0
	s_and_saveexec_b64 s[52:53], vcc
	s_cbranch_execz .LBB2_26
; %bb.30:                               ;   in Loop: Header=BB2_28 Depth=2
	s_trap 2
	ds_read_b64 v[4:5], v0
	v_mov_b32_e32 v7, 0
	s_waitcnt vmcnt(0) lgkmcnt(0)
	flat_load_dword v5, v[4:5] glc
	s_waitcnt vmcnt(0) lgkmcnt(0)
	buffer_invl2
	buffer_wbinvl1_vol
	v_mov_b32_e32 v4, 0
	v_cmp_ne_u32_e32 vcc, 0, v5
	s_and_saveexec_b64 s[56:57], vcc
	s_cbranch_execz .LBB2_25
; %bb.31:                               ;   in Loop: Header=BB2_28 Depth=2
	v_mov_b32_e32 v7, 1
	s_xor_b64 s[54:55], exec, -1
	ds_write_b32 v0, v5
	s_trap 2
	s_branch .LBB2_25
.LBB2_32:                               ;   in Loop: Header=BB2_21 Depth=1
	s_or_b64 exec, exec, s[46:47]
	v_accvgpr_read_b32 v8, a40
	v_accvgpr_read_b32 v9, a41
.LBB2_33:                               ;   in Loop: Header=BB2_21 Depth=1
	s_or_b64 exec, exec, s[44:45]
.LBB2_34:                               ;   in Loop: Header=BB2_21 Depth=1
	s_or_b64 exec, exec, s[20:21]
	s_and_saveexec_b64 s[20:21], s[8:9]
	s_cbranch_execz .LBB2_36
; %bb.35:                               ;   in Loop: Header=BB2_21 Depth=1
	v_and_b32_e32 v22, 0x7ffffff8, v14
	v_mov_b32_e32 v4, s23
	v_cmp_eq_u64_e32 vcc, s[36:37], v[22:23]
	v_accvgpr_read_b32 v5, a39
	v_cndmask_b32_e32 v4, v5, v4, vcc
	v_and_b32_e32 v8, 7, v14
	v_ashrrev_i32_e32 v5, 31, v4
	v_mad_u64_u32 v[8:9], vcc, v8, 24, v[12:13]
	flat_store_dwordx2 v[8:9], v[4:5] offset:8
	s_waitcnt vmcnt(0)
	v_accvgpr_read_b32 v8, a40
	v_accvgpr_read_b32 v9, a41
.LBB2_36:                               ;   in Loop: Header=BB2_21 Depth=1
	s_or_b64 exec, exec, s[20:21]
	v_pk_mov_b32 v[14:15], v[0:1], v[0:1] op_sel:[0,1]
.LBB2_37:                               ;   in Loop: Header=BB2_21 Depth=1
	s_or_b64 exec, exec, s[18:19]
	s_and_saveexec_b64 s[18:19], s[10:11]
	s_cbranch_execz .LBB2_56
; %bb.38:                               ;   in Loop: Header=BB2_21 Depth=1
	s_and_saveexec_b64 s[20:21], s[30:31]
	s_xor_b64 s[20:21], exec, s[20:21]
	s_cbranch_execz .LBB2_53
; %bb.39:                               ;   in Loop: Header=BB2_21 Depth=1
	s_and_saveexec_b64 s[44:45], s[12:13]
	s_cbranch_execz .LBB2_52
; %bb.40:                               ;   in Loop: Header=BB2_21 Depth=1
	s_mov_b64 s[48:49], exec
	v_mbcnt_lo_u32_b32 v0, s48, 0
	v_mbcnt_hi_u32_b32 v0, s49, v0
	v_cmp_eq_u32_e32 vcc, 0, v0
	s_waitcnt vmcnt(0) lgkmcnt(0)
	buffer_wbinvl1_vol
	s_and_saveexec_b64 s[46:47], vcc
	s_cbranch_execz .LBB2_42
; %bb.41:                               ;   in Loop: Header=BB2_21 Depth=1
	s_bcnt1_i32_b64 vcc_lo, s[48:49]
	v_mov_b32_e32 v22, vcc_lo
	ds_add_u64 v0, v[22:23]
	s_trap 2
.LBB2_42:                               ;   in Loop: Header=BB2_21 Depth=1
	s_or_b64 exec, exec, s[46:47]
	s_trap 2
	ds_read_b64 v[0:1], v0
	v_accvgpr_read_b32 v4, a26
	v_add_co_u32_e32 v42, vcc, v42, v4
	v_accvgpr_read_b32 v5, a27
	v_addc_co_u32_e32 v43, vcc, v43, v5, vcc
	s_waitcnt lgkmcnt(0)
	v_cmp_lt_u64_e32 vcc, v[0:1], v[42:43]
	s_and_saveexec_b64 s[46:47], vcc
	s_cbranch_execz .LBB2_51
; %bb.43:                               ;   in Loop: Header=BB2_21 Depth=1
	s_mov_b32 s58, 0
	s_mov_b64 s[48:49], 0
                                        ; implicit-def: $sgpr50_sgpr51
                                        ; implicit-def: $sgpr52_sgpr53
	s_branch .LBB2_45
.LBB2_44:                               ;   in Loop: Header=BB2_45 Depth=2
	s_or_b64 exec, exec, s[56:57]
	s_and_b64 vcc, exec, vcc
	s_or_b64 s[48:49], vcc, s[48:49]
	s_andn2_b64 vcc, s[50:51], exec
	s_and_b64 s[50:51], s[52:53], exec
	s_or_b64 s[50:51], vcc, s[50:51]
	s_andn2_b64 exec, exec, s[48:49]
	s_cbranch_execz .LBB2_49
.LBB2_45:                               ;   Parent Loop BB2_21 Depth=1
                                        ; =>  This Inner Loop Header: Depth=2
	s_add_i32 s58, s58, 1
	s_cmpk_lg_i32 s58, 0x2710
	s_cselect_b64 s[54:55], -1, 0
	s_and_b64 vcc, exec, s[54:55]
                                        ; implicit-def: $sgpr56_sgpr57
	s_cbranch_vccnz .LBB2_47
; %bb.46:                               ;   in Loop: Header=BB2_45 Depth=2
	s_trap 2
	ds_read_b64 v[0:1], v0
	s_andn2_b64 s[54:55], s[54:55], exec
	s_mov_b32 s58, 0
	s_mov_b64 s[56:57], -1
	s_waitcnt lgkmcnt(0)
	flat_load_dword v0, v[0:1] glc
	s_waitcnt vmcnt(0) lgkmcnt(0)
	buffer_invl2
	buffer_wbinvl1_vol
	v_cmp_eq_u32_e32 vcc, 0, v0
	s_and_b64 vcc, vcc, exec
	s_or_b64 s[54:55], s[54:55], vcc
.LBB2_47:                               ;   in Loop: Header=BB2_45 Depth=2
	s_andn2_b64 s[52:53], s[52:53], exec
	s_and_b64 s[56:57], s[56:57], exec
	s_mov_b64 vcc, -1
	s_or_b64 s[52:53], s[52:53], s[56:57]
	s_and_saveexec_b64 s[56:57], s[54:55]
	s_cbranch_execz .LBB2_44
; %bb.48:                               ;   in Loop: Header=BB2_45 Depth=2
	s_sleep 1
	s_trap 2
	ds_read_b64 v[0:1], v0
	s_andn2_b64 s[52:53], s[52:53], exec
	s_waitcnt lgkmcnt(0)
	v_cmp_ge_u64_e32 vcc, v[0:1], v[42:43]
	s_orn2_b64 vcc, vcc, exec
	s_branch .LBB2_44
.LBB2_49:                               ;   in Loop: Header=BB2_21 Depth=1
	s_or_b64 exec, exec, s[48:49]
	s_and_saveexec_b64 vcc, s[50:51]
	s_xor_b64 vcc, exec, vcc
	s_cbranch_execz .LBB2_51
; %bb.50:                               ;   in Loop: Header=BB2_21 Depth=1
	v_mov_b32_e32 v0, 1
	ds_write_b32 v0, v0
	s_trap 2
.LBB2_51:                               ;   in Loop: Header=BB2_21 Depth=1
	s_or_b64 exec, exec, s[46:47]
	;;#ASMSTART
	s_wakeup
	;;#ASMEND
.LBB2_52:                               ;   in Loop: Header=BB2_21 Depth=1
	s_or_b64 exec, exec, s[44:45]
.LBB2_53:                               ;   in Loop: Header=BB2_21 Depth=1
	s_andn2_saveexec_b64 s[20:21], s[20:21]
	s_cbranch_execz .LBB2_55
; %bb.54:                               ;   in Loop: Header=BB2_21 Depth=1
	s_waitcnt vmcnt(0) lgkmcnt(0)
	buffer_wbinvl1_vol
	s_barrier
.LBB2_55:                               ;   in Loop: Header=BB2_21 Depth=1
	s_or_b64 exec, exec, s[20:21]
.LBB2_56:                               ;   in Loop: Header=BB2_21 Depth=1
	s_or_b64 exec, exec, s[18:19]
	v_accvgpr_read_b32 v0, a28
	v_sub_u32_e32 v21, v3, v0
	v_cmp_lt_i32_e64 s[18:19], 0, v21
	v_and_b32_e32 v1, 7, v16
	v_mov_b32_e32 v0, v44
	s_and_saveexec_b64 s[20:21], s[18:19]
	s_cbranch_execz .LBB2_64
; %bb.57:                               ;   in Loop: Header=BB2_21 Depth=1
	v_accvgpr_read_b32 v24, a34
	s_waitcnt vmcnt(0) lgkmcnt(0)
	v_ashrrev_i32_e32 v0, 31, v2
	v_mov_b32_e32 v3, v16
	v_add_co_u32_e64 v8, vcc, 0, 0
	v_accvgpr_read_b32 v18, a22
	v_accvgpr_read_b32 v25, a35
	;; [unrolled: 1-line block ×3, first 2 shown]
	v_mul_lo_u32 v4, v1, s60
	v_addc_co_u32_e32 v3, vcc, 1, v3, vcc
	v_mad_u64_u32 v[10:11], vcc, v18, v2, v[24:25]
	v_mul_lo_u32 v9, v9, v2
	v_mul_lo_u32 v0, v18, v0
	v_ashrrev_i32_e32 v5, 31, v4
	v_add3_u32 v11, v9, v11, v0
	v_mul_lo_u32 v0, v18, v2
	v_add_lshl_u32 v9, v24, v0, 3
	v_lshlrev_b64 v[4:5], 4, v[4:5]
	v_accvgpr_read_b32 v0, a37
	v_add_co_u32_e32 v18, vcc, v0, v4
	v_accvgpr_read_b32 v0, a38
	v_addc_co_u32_e32 v19, vcc, v0, v5, vcc
	s_mov_b64 s[44:45], 0
	v_mov_b32_e32 v26, v21
	v_mov_b32_e32 v0, v44
	s_branch .LBB2_59
.LBB2_58:                               ;   in Loop: Header=BB2_59 Depth=2
	s_or_b64 exec, exec, s[46:47]
	v_add_co_u32_e32 v10, vcc, v10, v56
	s_waitcnt vmcnt(0)
	v_alignbit_b32 v2, v28, v2, v9
	v_alignbit_b32 v4, v27, v28, v9
	v_sub_u32_e32 v26, v26, v56
	v_addc_co_u32_e32 v11, vcc, v11, v45, vcc
	v_or_b32_e32 v2, v8, v2
	v_or_b32_e32 v4, v8, v4
	v_mov_b32_e32 v5, v3
	v_cmp_gt_i32_e32 vcc, 1, v26
	global_store_dwordx4 v[18:19], v[2:5], off
	s_or_b64 s[44:45], vcc, s[44:45]
	v_add_co_u32_e32 v18, vcc, v18, v58
	v_add_u32_e32 v0, v0, v20
	v_add_u32_e32 v9, v9, v29
	v_addc_co_u32_e32 v19, vcc, v19, v59, vcc
	s_andn2_b64 exec, exec, s[44:45]
	s_cbranch_execz .LBB2_63
.LBB2_59:                               ;   Parent Loop BB2_21 Depth=1
                                        ; =>  This Inner Loop Header: Depth=2
	v_and_b32_e32 v4, -4, v10
	v_mov_b32_e32 v5, v11
	global_load_dword v2, v[4:5], off glc slc
	v_min_u32_e32 v22, 8, v26
	v_and_b32_e32 v24, 3, v10
	v_add_co_u32_e32 v24, vcc, v24, v22
	v_addc_co_u32_e64 v25, vcc, 0, 0, vcc
	v_mov_b32_e32 v27, 0
	v_cmp_lt_u64_e32 vcc, 4, v[24:25]
	v_mov_b32_e32 v28, 0
	s_and_saveexec_b64 s[46:47], vcc
	s_cbranch_execz .LBB2_61
; %bb.60:                               ;   in Loop: Header=BB2_59 Depth=2
	global_load_dword v28, v[4:5], off offset:4 glc slc
.LBB2_61:                               ;   in Loop: Header=BB2_59 Depth=2
	s_or_b64 exec, exec, s[46:47]
	v_cmp_lt_u64_e32 vcc, 8, v[24:25]
	s_and_saveexec_b64 s[46:47], vcc
	s_cbranch_execz .LBB2_58
; %bb.62:                               ;   in Loop: Header=BB2_59 Depth=2
	global_load_dword v27, v[4:5], off offset:8 glc slc
	s_branch .LBB2_58
.LBB2_63:                               ;   in Loop: Header=BB2_21 Depth=1
	s_or_b64 exec, exec, s[44:45]
	v_accvgpr_read_b32 v8, a40
	v_accvgpr_read_b32 v9, a41
.LBB2_64:                               ;   in Loop: Header=BB2_21 Depth=1
	s_or_b64 exec, exec, s[20:21]
	v_and_b32_e32 v22, 0x7ffffff8, v16
	v_cmp_eq_u64_e32 vcc, s[36:37], v[22:23]
	v_cmp_gt_i32_e64 s[20:21], s60, v0
	s_and_b64 s[20:21], vcc, s[20:21]
	s_and_saveexec_b64 s[44:45], s[20:21]
	s_cbranch_execz .LBB2_67
; %bb.65:                               ;   in Loop: Header=BB2_21 Depth=1
	v_mul_lo_u32 v4, v1, s60
	v_mov_b32_e32 v1, v16
	s_waitcnt vmcnt(0) lgkmcnt(0)
	v_add_co_u32_e64 v2, vcc, 0, 0
	v_ashrrev_i32_e32 v5, 31, v4
	v_addc_co_u32_e32 v3, vcc, 1, v1, vcc
	v_ashrrev_i32_e32 v1, 31, v0
	v_lshlrev_b64 v[8:9], 4, v[0:1]
	v_lshlrev_b64 v[4:5], 4, v[4:5]
	v_add_co_u32_e32 v1, vcc, v8, v4
	v_addc_co_u32_e32 v4, vcc, v9, v5, vcc
	v_accvgpr_read_b32 v8, a18
	v_accvgpr_read_b32 v9, a19
	v_add_co_u32_e32 v10, vcc, v8, v1
	v_addc_co_u32_e32 v11, vcc, v9, v4, vcc
	v_accvgpr_read_b32 v8, a40
	v_accvgpr_read_b32 v9, a41
	s_mov_b64 s[46:47], 0
.LBB2_66:                               ;   Parent Loop BB2_21 Depth=1
                                        ; =>  This Inner Loop Header: Depth=2
	v_mov_b32_e32 v4, v2
	v_mov_b32_e32 v5, v3
	v_add_u32_e32 v0, v0, v20
	global_store_dwordx4 v[10:11], v[2:5], off
	v_cmp_le_i32_e32 vcc, s60, v0
	v_add_co_u32_e64 v10, s[20:21], v10, v58
	s_or_b64 s[46:47], vcc, s[46:47]
	v_addc_co_u32_e64 v11, vcc, v11, v59, s[20:21]
	s_andn2_b64 exec, exec, s[46:47]
	s_cbranch_execnz .LBB2_66
.LBB2_67:                               ;   in Loop: Header=BB2_21 Depth=1
	s_or_b64 exec, exec, s[44:45]
	v_accvgpr_read_b32 v0, a6
	v_accvgpr_read_b32 v1, a7
	s_waitcnt vmcnt(0) lgkmcnt(0)
	v_add_co_u32_e32 v2, vcc, v8, v0
	v_addc_co_u32_e32 v1, vcc, v9, v1, vcc
	v_add_co_u32_e64 v28, s[20:21], 1, v16
	v_accvgpr_write_b32 a36, v29
	s_andn2_b64 vcc, exec, s[34:35]
	v_addc_co_u32_e64 v29, s[20:21], 0, v17, s[20:21]
	s_cbranch_vccnz .LBB2_469
; %bb.68:                               ;   in Loop: Header=BB2_21 Depth=1
	v_accvgpr_read_b32 v0, a30
	v_accvgpr_write_b32 a42, v2
	v_add_co_u32_e32 v2, vcc, v0, v2
	v_accvgpr_read_b32 v0, a31
	v_addc_co_u32_e32 v3, vcc, v0, v1, vcc
	v_accvgpr_write_b32 a45, v3
	v_accvgpr_write_b32 a43, v1
	v_accvgpr_write_b32 a44, v2
	v_add_u16_e32 v54, 1, v16
	s_mov_b32 s71, 2
	s_branch .LBB2_70
.LBB2_69:                               ;   in Loop: Header=BB2_70 Depth=2
	s_or_b64 exec, exec, s[44:45]
	v_add_co_u32_e32 v34, vcc, 1, v34
	v_addc_co_u32_e32 v35, vcc, 0, v35, vcc
	s_add_i32 s71, s71, 1
	v_add_co_u32_e32 v28, vcc, 1, v28
	v_addc_co_u32_e32 v29, vcc, 0, v29, vcc
	s_cmp_eq_u32 s71, s22
	v_add_u16_e32 v54, 1, v54
	s_cbranch_scc1 .LBB2_470
.LBB2_70:                               ;   Parent Loop BB2_21 Depth=1
                                        ; =>  This Loop Header: Depth=2
                                        ;       Child Loop BB2_85 Depth 3
                                        ;       Child Loop BB2_101 Depth 3
	;; [unrolled: 1-line block ×3, first 2 shown]
                                        ;         Child Loop BB2_122 Depth 4
                                        ;       Child Loop BB2_458 Depth 3
                                        ;       Child Loop BB2_78 Depth 3
	s_sub_i32 s20, s22, s71
	s_ashr_i32 s21, s20, 31
	s_lshl_b64 s[20:21], s[20:21], 2
	s_waitcnt vmcnt(0) lgkmcnt(0)
	v_accvgpr_read_b32 v2, a4
	v_mov_b32_e32 v1, s21
	v_accvgpr_read_b32 v3, a5
	v_add_co_u32_e32 v0, vcc, s20, v2
	v_addc_co_u32_e32 v1, vcc, v3, v1, vcc
	flat_load_dword v2, v[0:1]
	s_and_saveexec_b64 s[20:21], s[6:7]
	s_cbranch_execnz .LBB2_79
; %bb.71:                               ;   in Loop: Header=BB2_70 Depth=2
	s_or_b64 exec, exec, s[20:21]
	s_and_saveexec_b64 s[20:21], s[10:11]
	s_cbranch_execnz .LBB2_94
.LBB2_72:                               ;   in Loop: Header=BB2_70 Depth=2
	s_or_b64 exec, exec, s[20:21]
	v_mov_b32_e32 v0, v44
	s_and_saveexec_b64 s[44:45], s[18:19]
	s_cbranch_execnz .LBB2_112
.LBB2_73:                               ;   in Loop: Header=BB2_70 Depth=2
	s_or_b64 exec, exec, s[44:45]
	s_and_saveexec_b64 s[20:21], s[10:11]
	s_cbranch_execnz .LBB2_451
.LBB2_74:                               ;   in Loop: Header=BB2_70 Depth=2
	s_or_b64 exec, exec, s[20:21]
	s_and_saveexec_b64 s[20:21], s[16:17]
	s_cbranch_execz .LBB2_76
.LBB2_75:                               ;   in Loop: Header=BB2_70 Depth=2
	v_add_co_u32_e32 v38, vcc, 1, v38
	s_waitcnt vmcnt(0) lgkmcnt(0)
	v_accvgpr_read_b32 v2, a20
	v_addc_co_u32_e32 v39, vcc, 0, v39, vcc
	v_accvgpr_read_b32 v3, a21
	flat_store_dwordx2 v[2:3], v[38:39]
.LBB2_76:                               ;   in Loop: Header=BB2_70 Depth=2
	s_or_b64 exec, exec, s[20:21]
	v_and_b32_e32 v22, 0x7ffffff8, v28
	v_cmp_eq_u64_e32 vcc, s[36:37], v[22:23]
	v_cmp_gt_i32_e64 s[20:21], s60, v0
	s_and_b64 s[20:21], vcc, s[20:21]
	s_and_saveexec_b64 s[44:45], s[20:21]
	s_cbranch_execz .LBB2_69
; %bb.77:                               ;   in Loop: Header=BB2_70 Depth=2
	v_and_b32_e32 v1, 7, v54
	s_waitcnt vmcnt(0) lgkmcnt(0)
	v_mul_lo_u32 v2, s60, v1
	v_ashrrev_i32_e32 v3, 31, v2
	v_lshlrev_b64 v[4:5], 4, v[2:3]
	v_mov_b32_e32 v1, v28
	v_add_co_u32_e64 v2, vcc, 0, 0
	v_addc_co_u32_e32 v3, vcc, 1, v1, vcc
	v_ashrrev_i32_e32 v1, 31, v0
	v_lshlrev_b64 v[8:9], 4, v[0:1]
	v_add_co_u32_e32 v1, vcc, v8, v4
	v_addc_co_u32_e32 v4, vcc, v9, v5, vcc
	v_accvgpr_read_b32 v8, a18
	v_accvgpr_read_b32 v9, a19
	v_add_co_u32_e32 v10, vcc, v8, v1
	v_addc_co_u32_e32 v11, vcc, v9, v4, vcc
	v_accvgpr_read_b32 v8, a40
	v_accvgpr_read_b32 v9, a41
	s_mov_b64 s[46:47], 0
.LBB2_78:                               ;   Parent Loop BB2_21 Depth=1
                                        ;     Parent Loop BB2_70 Depth=2
                                        ; =>    This Inner Loop Header: Depth=3
	v_mov_b32_e32 v4, v2
	v_mov_b32_e32 v5, v3
	v_add_u32_e32 v0, v0, v20
	global_store_dwordx4 v[10:11], v[2:5], off
	v_cmp_le_i32_e32 vcc, s60, v0
	v_add_co_u32_e64 v10, s[20:21], v10, v58
	s_or_b64 s[46:47], vcc, s[46:47]
	v_addc_co_u32_e64 v11, vcc, v11, v59, s[20:21]
	s_andn2_b64 exec, exec, s[46:47]
	s_cbranch_execnz .LBB2_78
	s_branch .LBB2_69
.LBB2_79:                               ;   in Loop: Header=BB2_70 Depth=2
	v_add_co_u32_e32 v0, vcc, 1, v14
	v_addc_co_u32_e32 v1, vcc, 0, v15, vcc
	v_add_co_u32_e32 v4, vcc, 8, v52
	v_addc_co_u32_e32 v5, vcc, 0, v53, vcc
	v_cmp_lt_u64_e32 vcc, v[4:5], v[0:1]
	s_and_saveexec_b64 s[44:45], vcc
	s_cbranch_execz .LBB2_91
; %bb.80:                               ;   in Loop: Header=BB2_70 Depth=2
	s_sleep 1
	flat_load_dwordx2 v[52:53], v[50:51] glc
	v_cmp_eq_u32_e32 vcc, 0, v7
	s_and_saveexec_b64 s[46:47], vcc
	s_cbranch_execz .LBB2_90
; %bb.81:                               ;   in Loop: Header=BB2_70 Depth=2
	v_cndmask_b32_e64 v3, 0, 1, vcc
	s_mov_b64 s[48:49], 0
                                        ; implicit-def: $sgpr50_sgpr51
	s_branch .LBB2_85
.LBB2_82:                               ;   in Loop: Header=BB2_85 Depth=3
	s_or_b64 exec, exec, s[58:59]
	s_orn2_b64 s[56:57], s[56:57], exec
.LBB2_83:                               ;   in Loop: Header=BB2_85 Depth=3
	s_or_b64 exec, exec, s[54:55]
	s_xor_b64 vcc, s[56:57], -1
	s_andn2_b64 s[50:51], s[50:51], exec
	s_and_b64 vcc, vcc, exec
	s_or_b64 s[50:51], s[50:51], vcc
.LBB2_84:                               ;   in Loop: Header=BB2_85 Depth=3
	s_or_b64 exec, exec, s[52:53]
	s_and_b64 vcc, exec, s[50:51]
	s_or_b64 s[48:49], vcc, s[48:49]
	s_andn2_b64 exec, exec, s[48:49]
	s_cbranch_execz .LBB2_89
.LBB2_85:                               ;   Parent Loop BB2_21 Depth=1
                                        ;     Parent Loop BB2_70 Depth=2
                                        ; =>    This Inner Loop Header: Depth=3
	s_waitcnt vmcnt(0) lgkmcnt(0)
	v_add_co_u32_e32 v4, vcc, 8, v52
	v_addc_co_u32_e32 v5, vcc, 0, v53, vcc
	v_cmp_lt_u64_e32 vcc, v[4:5], v[0:1]
	v_mov_b32_e32 v7, 0
	s_or_b64 s[50:51], s[50:51], exec
	s_and_saveexec_b64 s[52:53], vcc
	s_cbranch_execz .LBB2_84
; %bb.86:                               ;   in Loop: Header=BB2_85 Depth=3
	s_sleep 1
	flat_load_dwordx2 v[52:53], v[50:51] glc
	v_add_u32_e32 v3, 1, v3
	v_cmp_eq_u32_e32 vcc, s61, v3
	s_mov_b64 s[56:57], -1
	v_mov_b32_e32 v7, 0
	s_and_saveexec_b64 s[54:55], vcc
	s_cbranch_execz .LBB2_83
; %bb.87:                               ;   in Loop: Header=BB2_85 Depth=3
	s_trap 2
	ds_read_b64 v[4:5], v0
	v_mov_b32_e32 v3, 0
	v_mov_b32_e32 v7, 0
	s_waitcnt vmcnt(0) lgkmcnt(0)
	flat_load_dword v4, v[4:5] glc
	s_waitcnt vmcnt(0) lgkmcnt(0)
	buffer_invl2
	buffer_wbinvl1_vol
	v_cmp_ne_u32_e32 vcc, 0, v4
	s_and_saveexec_b64 s[58:59], vcc
	s_cbranch_execz .LBB2_82
; %bb.88:                               ;   in Loop: Header=BB2_85 Depth=3
	v_mov_b32_e32 v7, 1
	s_xor_b64 s[56:57], exec, -1
	ds_write_b32 v0, v4
	s_trap 2
	s_branch .LBB2_82
.LBB2_89:                               ;   in Loop: Header=BB2_70 Depth=2
	s_or_b64 exec, exec, s[48:49]
.LBB2_90:                               ;   in Loop: Header=BB2_70 Depth=2
	s_or_b64 exec, exec, s[46:47]
.LBB2_91:                               ;   in Loop: Header=BB2_70 Depth=2
	s_or_b64 exec, exec, s[44:45]
	s_and_saveexec_b64 s[44:45], s[8:9]
	s_cbranch_execz .LBB2_93
; %bb.92:                               ;   in Loop: Header=BB2_70 Depth=2
	v_and_b32_e32 v22, 0x7ffffff8, v14
	v_mov_b32_e32 v3, s23
	v_cmp_eq_u64_e32 vcc, s[36:37], v[22:23]
	v_accvgpr_read_b32 v4, a39
	v_cndmask_b32_e32 v4, v4, v3, vcc
	v_and_b32_e32 v3, 7, v14
	v_ashrrev_i32_e32 v5, 31, v4
	v_mad_u64_u32 v[8:9], vcc, v3, 24, v[12:13]
	flat_store_dwordx2 v[8:9], v[4:5] offset:8
	s_waitcnt vmcnt(0)
	v_accvgpr_read_b32 v8, a40
	v_accvgpr_read_b32 v9, a41
.LBB2_93:                               ;   in Loop: Header=BB2_70 Depth=2
	s_or_b64 exec, exec, s[44:45]
	v_pk_mov_b32 v[14:15], v[0:1], v[0:1] op_sel:[0,1]
	s_or_b64 exec, exec, s[20:21]
	s_and_saveexec_b64 s[20:21], s[10:11]
	s_cbranch_execz .LBB2_72
.LBB2_94:                               ;   in Loop: Header=BB2_70 Depth=2
	s_and_saveexec_b64 vcc, s[30:31]
	s_xor_b64 s[44:45], exec, vcc
	s_cbranch_execz .LBB2_109
; %bb.95:                               ;   in Loop: Header=BB2_70 Depth=2
	s_and_saveexec_b64 s[46:47], s[12:13]
	s_cbranch_execz .LBB2_108
; %bb.96:                               ;   in Loop: Header=BB2_70 Depth=2
	s_mov_b64 s[50:51], exec
	v_mbcnt_lo_u32_b32 v0, s50, 0
	v_mbcnt_hi_u32_b32 v0, s51, v0
	v_cmp_eq_u32_e32 vcc, 0, v0
	s_waitcnt vmcnt(0) lgkmcnt(0)
	buffer_wbinvl1_vol
	s_and_saveexec_b64 s[48:49], vcc
	s_cbranch_execz .LBB2_98
; %bb.97:                               ;   in Loop: Header=BB2_70 Depth=2
	s_bcnt1_i32_b64 vcc_lo, s[50:51]
	v_mov_b32_e32 v22, vcc_lo
	ds_add_u64 v0, v[22:23]
	s_trap 2
.LBB2_98:                               ;   in Loop: Header=BB2_70 Depth=2
	s_or_b64 exec, exec, s[48:49]
	s_trap 2
	ds_read_b64 v[0:1], v0
	v_accvgpr_read_b32 v4, a26
	v_add_co_u32_e32 v42, vcc, v42, v4
	v_accvgpr_read_b32 v3, a27
	v_addc_co_u32_e32 v43, vcc, v43, v3, vcc
	s_waitcnt lgkmcnt(0)
	v_cmp_lt_u64_e32 vcc, v[0:1], v[42:43]
	s_and_saveexec_b64 s[48:49], vcc
	s_cbranch_execz .LBB2_107
; %bb.99:                               ;   in Loop: Header=BB2_70 Depth=2
	s_mov_b32 s72, 0
	s_mov_b64 s[50:51], 0
                                        ; implicit-def: $sgpr52_sgpr53
                                        ; implicit-def: $sgpr54_sgpr55
	s_branch .LBB2_101
.LBB2_100:                              ;   in Loop: Header=BB2_101 Depth=3
	s_or_b64 exec, exec, s[58:59]
	s_and_b64 vcc, exec, vcc
	s_or_b64 s[50:51], vcc, s[50:51]
	s_andn2_b64 vcc, s[52:53], exec
	s_and_b64 s[52:53], s[54:55], exec
	s_or_b64 s[52:53], vcc, s[52:53]
	s_andn2_b64 exec, exec, s[50:51]
	s_cbranch_execz .LBB2_105
.LBB2_101:                              ;   Parent Loop BB2_21 Depth=1
                                        ;     Parent Loop BB2_70 Depth=2
                                        ; =>    This Inner Loop Header: Depth=3
	s_add_i32 s72, s72, 1
	s_cmpk_lg_i32 s72, 0x2710
	s_cselect_b64 s[56:57], -1, 0
	s_and_b64 vcc, exec, s[56:57]
                                        ; implicit-def: $sgpr58_sgpr59
	s_cbranch_vccnz .LBB2_103
; %bb.102:                              ;   in Loop: Header=BB2_101 Depth=3
	s_trap 2
	ds_read_b64 v[0:1], v0
	s_andn2_b64 s[56:57], s[56:57], exec
	s_mov_b32 s72, 0
	s_mov_b64 s[58:59], -1
	s_waitcnt lgkmcnt(0)
	flat_load_dword v0, v[0:1] glc
	s_waitcnt vmcnt(0) lgkmcnt(0)
	buffer_invl2
	buffer_wbinvl1_vol
	v_cmp_eq_u32_e32 vcc, 0, v0
	s_and_b64 vcc, vcc, exec
	s_or_b64 s[56:57], s[56:57], vcc
.LBB2_103:                              ;   in Loop: Header=BB2_101 Depth=3
	s_andn2_b64 s[54:55], s[54:55], exec
	s_and_b64 s[58:59], s[58:59], exec
	s_mov_b64 vcc, -1
	s_or_b64 s[54:55], s[54:55], s[58:59]
	s_and_saveexec_b64 s[58:59], s[56:57]
	s_cbranch_execz .LBB2_100
; %bb.104:                              ;   in Loop: Header=BB2_101 Depth=3
	s_sleep 1
	s_trap 2
	ds_read_b64 v[0:1], v0
	s_andn2_b64 s[54:55], s[54:55], exec
	s_waitcnt lgkmcnt(0)
	v_cmp_ge_u64_e32 vcc, v[0:1], v[42:43]
	s_orn2_b64 vcc, vcc, exec
	s_branch .LBB2_100
.LBB2_105:                              ;   in Loop: Header=BB2_70 Depth=2
	s_or_b64 exec, exec, s[50:51]
	s_and_saveexec_b64 vcc, s[52:53]
	s_xor_b64 vcc, exec, vcc
	s_cbranch_execz .LBB2_107
; %bb.106:                              ;   in Loop: Header=BB2_70 Depth=2
	v_mov_b32_e32 v0, 1
	ds_write_b32 v0, v0
	s_trap 2
.LBB2_107:                              ;   in Loop: Header=BB2_70 Depth=2
	s_or_b64 exec, exec, s[48:49]
	;;#ASMSTART
	s_wakeup
	;;#ASMEND
.LBB2_108:                              ;   in Loop: Header=BB2_70 Depth=2
	s_or_b64 exec, exec, s[46:47]
.LBB2_109:                              ;   in Loop: Header=BB2_70 Depth=2
	s_andn2_saveexec_b64 vcc, s[44:45]
	s_cbranch_execz .LBB2_111
; %bb.110:                              ;   in Loop: Header=BB2_70 Depth=2
	s_waitcnt vmcnt(0) lgkmcnt(0)
	buffer_wbinvl1_vol
	s_barrier
.LBB2_111:                              ;   in Loop: Header=BB2_70 Depth=2
	s_or_b64 exec, exec, vcc
	s_or_b64 exec, exec, s[20:21]
	v_mov_b32_e32 v0, v44
	s_and_saveexec_b64 s[44:45], s[18:19]
	s_cbranch_execz .LBB2_73
.LBB2_112:                              ;   in Loop: Header=BB2_70 Depth=2
	v_accvgpr_read_b32 v4, a44
	s_waitcnt vmcnt(0) lgkmcnt(0)
	v_ashrrev_i32_e32 v0, 31, v2
	v_accvgpr_read_b32 v3, a22
	v_accvgpr_read_b32 v5, a45
	;; [unrolled: 1-line block ×3, first 2 shown]
	v_mad_u64_u32 v[10:11], s[20:21], v3, v2, v[4:5]
	v_mul_lo_u32 v1, v1, v2
	v_mul_lo_u32 v0, v3, v0
	v_add3_u32 v11, v1, v11, v0
	v_and_b32_e32 v0, 7, v34
	v_mul_lo_u32 v0, v0, s60
	v_ashrrev_i32_e32 v1, 31, v0
	v_lshlrev_b64 v[0:1], 4, v[0:1]
	v_accvgpr_read_b32 v2, a16
	v_add_co_u32_e32 v55, vcc, v2, v0
	v_and_b32_e32 v0, 7, v28
	v_accvgpr_read_b32 v3, a17
	v_mul_lo_u32 v0, v0, s60
	v_addc_co_u32_e32 v57, vcc, v3, v1, vcc
	v_ashrrev_i32_e32 v1, 31, v0
	v_lshlrev_b64 v[0:1], 4, v[0:1]
	v_accvgpr_read_b32 v2, a18
	v_accvgpr_read_b32 v3, a19
	v_add_co_u32_e32 v49, vcc, v2, v0
	v_addc_co_u32_e32 v31, vcc, v3, v1, vcc
	v_mov_b32_e32 v1, v28
	v_add_co_u32_e64 v8, vcc, 0, 0
	v_add_u32_e32 v48, 1, v34
	v_addc_co_u32_e32 v3, vcc, 1, v1, vcc
	s_mov_b64 s[46:47], 0
	v_mov_b32_e32 v9, v21
	v_mov_b32_e32 v0, v44
	s_branch .LBB2_114
.LBB2_113:                              ;   in Loop: Header=BB2_114 Depth=3
	s_or_b64 exec, exec, s[20:21]
	v_lshlrev_b32_e32 v17, 8, v32
	v_add_co_u32_e32 v10, vcc, v10, v56
	v_perm_b32 v1, v17, v1, s67
	v_lshlrev_b32_e32 v17, 8, v60
	v_addc_co_u32_e32 v11, vcc, v11, v45, vcc
	v_lshlrev_b32_e32 v18, 24, v16
	v_perm_b32 v16, v17, v25, s67
	v_and_b32_e32 v2, 0xff, v33
	v_lshl_or_b32 v19, v61, 16, v16
	v_add_co_u32_e32 v16, vcc, v49, v4
	v_lshlrev_b32_e32 v2, 16, v2
	v_addc_co_u32_e32 v17, vcc, v31, v5, vcc
	v_sub_u32_e32 v9, v9, v56
	v_lshl_or_b32 v2, v24, 24, v2
	v_cmp_gt_i32_e32 vcc, 1, v9
	v_or3_b32 v2, v2, v1, v8
	v_or3_b32 v4, v18, v19, v8
	v_mov_b32_e32 v5, v3
	s_or_b64 s[46:47], vcc, s[46:47]
	v_add_u32_e32 v0, v0, v20
	global_store_dwordx4 v[16:17], v[2:5], off
	s_andn2_b64 exec, exec, s[46:47]
	s_cbranch_execz .LBB2_450
.LBB2_114:                              ;   Parent Loop BB2_21 Depth=1
                                        ;     Parent Loop BB2_70 Depth=2
                                        ; =>    This Loop Header: Depth=3
                                        ;         Child Loop BB2_122 Depth 4
	v_and_b32_e32 v4, -4, v10
	v_mov_b32_e32 v5, v11
	global_load_dword v2, v[4:5], off glc slc
	v_min_u32_e32 v1, 8, v9
	v_and_b32_e32 v16, 3, v10
	v_add_co_u32_e32 v16, vcc, v16, v1
	v_addc_co_u32_e64 v17, s[20:21], 0, 0, vcc
	v_mov_b32_e32 v60, 0
	v_cmp_lt_u64_e32 vcc, 4, v[16:17]
	v_mov_b32_e32 v61, 0
	s_and_saveexec_b64 s[20:21], vcc
	s_cbranch_execz .LBB2_116
; %bb.115:                              ;   in Loop: Header=BB2_114 Depth=3
	global_load_dword v61, v[4:5], off offset:4 glc slc
.LBB2_116:                              ;   in Loop: Header=BB2_114 Depth=3
	s_or_b64 exec, exec, s[20:21]
	v_cmp_lt_u64_e32 vcc, 8, v[16:17]
	s_and_saveexec_b64 s[20:21], vcc
	s_cbranch_execz .LBB2_118
; %bb.117:                              ;   in Loop: Header=BB2_114 Depth=3
	global_load_dword v60, v[4:5], off offset:8 glc slc
.LBB2_118:                              ;   in Loop: Header=BB2_114 Depth=3
	s_or_b64 exec, exec, s[20:21]
	v_ashrrev_i32_e32 v1, 31, v0
	v_lshlrev_b64 v[4:5], 4, v[0:1]
	v_add_co_u32_e32 v24, vcc, v55, v4
	v_addc_co_u32_e32 v25, vcc, v57, v5, vcc
	global_load_dwordx4 v[16:19], v[24:25], off glc slc
	v_cmp_eq_u32_e32 vcc, 0, v7
	s_and_saveexec_b64 s[48:49], vcc
	s_cbranch_execz .LBB2_130
; %bb.119:                              ;   in Loop: Header=BB2_114 Depth=3
	s_waitcnt vmcnt(0)
	v_cmp_ne_u32_e32 vcc, v48, v17
	v_cmp_ne_u32_e64 s[20:21], v48, v19
	s_or_b64 s[20:21], vcc, s[20:21]
	v_mov_b32_e32 v7, 0
	s_and_saveexec_b64 s[50:51], s[20:21]
	s_cbranch_execz .LBB2_129
; %bb.120:                              ;   in Loop: Header=BB2_114 Depth=3
	s_mov_b32 s56, 1
	s_mov_b64 s[52:53], 0
	v_mov_b32_e32 v7, 0
	s_branch .LBB2_122
.LBB2_121:                              ;   in Loop: Header=BB2_122 Depth=4
	s_or_b64 exec, exec, s[54:55]
	s_and_b64 s[20:21], exec, s[20:21]
	s_or_b64 s[52:53], s[20:21], s[52:53]
	s_andn2_b64 exec, exec, s[52:53]
	s_cbranch_execz .LBB2_128
.LBB2_122:                              ;   Parent Loop BB2_21 Depth=1
                                        ;     Parent Loop BB2_70 Depth=2
                                        ;       Parent Loop BB2_114 Depth=3
                                        ; =>      This Inner Loop Header: Depth=4
	global_load_dwordx4 v[16:19], v[24:25], off glc slc
	s_add_i32 s56, s56, 1
	s_cmpk_lg_i32 s56, 0x2710
	s_cbranch_scc1 .LBB2_126
; %bb.123:                              ;   in Loop: Header=BB2_122 Depth=4
	s_trap 2
	ds_read_b64 v[32:33], v0
	s_waitcnt vmcnt(0) lgkmcnt(0)
	flat_load_dword v1, v[32:33] glc
	s_waitcnt vmcnt(0) lgkmcnt(0)
	buffer_invl2
	buffer_wbinvl1_vol
	v_cmp_ne_u32_e32 vcc, 0, v1
	s_and_saveexec_b64 s[20:21], vcc
	s_cbranch_execz .LBB2_125
; %bb.124:                              ;   in Loop: Header=BB2_122 Depth=4
	v_mov_b32_e32 v7, 1
	ds_write_b32 v0, v1
	s_trap 2
.LBB2_125:                              ;   in Loop: Header=BB2_122 Depth=4
	s_or_b64 exec, exec, s[20:21]
	s_mov_b32 s56, 0
	v_mov_b32_e32 v1, v7
	v_cmp_eq_u32_e32 vcc, 0, v1
	s_mov_b64 s[20:21], -1
	s_and_saveexec_b64 s[54:55], vcc
	s_cbranch_execz .LBB2_121
	s_branch .LBB2_127
.LBB2_126:                              ;   in Loop: Header=BB2_122 Depth=4
	v_mov_b32_e32 v1, 0
	v_cmp_eq_u32_e32 vcc, 0, v1
	s_mov_b64 s[20:21], -1
	s_and_saveexec_b64 s[54:55], vcc
	s_cbranch_execz .LBB2_121
.LBB2_127:                              ;   in Loop: Header=BB2_122 Depth=4
	s_waitcnt vmcnt(0)
	v_cmp_eq_u32_e32 vcc, v48, v17
	v_cmp_eq_u32_e64 s[20:21], v48, v19
	s_and_b64 s[20:21], vcc, s[20:21]
	s_orn2_b64 s[20:21], s[20:21], exec
	s_branch .LBB2_121
.LBB2_128:                              ;   in Loop: Header=BB2_114 Depth=3
	s_or_b64 exec, exec, s[52:53]
.LBB2_129:                              ;   in Loop: Header=BB2_114 Depth=3
	s_or_b64 exec, exec, s[50:51]
.LBB2_130:                              ;   in Loop: Header=BB2_114 Depth=3
	s_or_b64 exec, exec, s[48:49]
	s_waitcnt vmcnt(0)
	v_lshlrev_b32_e32 v19, 3, v10
	v_alignbit_b32 v22, v61, v2, v19
	v_cmp_ne_u16_sdwa s[20:21], v16, v23 src0_sel:BYTE_0 src1_sel:DWORD
                                        ; implicit-def: $vgpr32
	s_and_saveexec_b64 vcc, s[14:15]
	s_xor_b64 s[48:49], exec, vcc
	s_cbranch_execz .LBB2_144
; %bb.131:                              ;   in Loop: Header=BB2_114 Depth=3
	v_mov_b32_e32 v2, 0
	v_mov_b32_e32 v1, 0
	s_and_saveexec_b64 s[50:51], s[20:21]
	s_cbranch_execz .LBB2_137
; %bb.132:                              ;   in Loop: Header=BB2_114 Depth=3
	v_cmp_ne_u16_sdwa vcc, v16, s63 src0_sel:BYTE_0 src1_sel:DWORD
	v_bfrev_b32_e32 v1, 1
	s_and_saveexec_b64 s[52:53], vcc
	s_cbranch_execz .LBB2_136
; %bb.133:                              ;   in Loop: Header=BB2_114 Depth=3
	v_and_b32_e32 v24, 0x7f, v16
	v_cmp_ne_u32_e32 vcc, s64, v24
	v_mov_b32_e32 v1, 0x7f800001
	s_and_saveexec_b64 s[54:55], vcc
	s_cbranch_execz .LBB2_135
; %bb.134:                              ;   in Loop: Header=BB2_114 Depth=3
	v_and_b32_e32 v1, 7, v16
	v_ffbh_u32_e32 v1, v1
	v_min_u32_e32 v1, 32, v1
	v_subrev_u32_e32 v26, 28, v1
	v_cmp_gt_u32_e32 vcc, 8, v24
	v_lshrrev_b32_e32 v25, 3, v24
	v_sub_u32_e32 v1, 29, v1
	v_cndmask_b32_e32 v24, 0, v26, vcc
	v_cndmask_b32_e32 v1, v25, v1, vcc
	v_lshlrev_b64 v[24:25], v24, v[16:17]
	v_lshlrev_b32_e32 v24, 20, v24
	v_lshlrev_b32_e32 v25, 24, v16
	v_and_b32_e32 v24, 0x700000, v24
	v_and_b32_e32 v25, 0x80000000, v25
	v_lshl_add_u32 v1, v1, 23, v46
	v_or3_b32 v1, v25, v1, v24
.LBB2_135:                              ;   in Loop: Header=BB2_114 Depth=3
	s_or_b64 exec, exec, s[54:55]
.LBB2_136:                              ;   in Loop: Header=BB2_114 Depth=3
	s_or_b64 exec, exec, s[52:53]
.LBB2_137:                              ;   in Loop: Header=BB2_114 Depth=3
	s_or_b64 exec, exec, s[50:51]
	v_cmp_ne_u16_sdwa vcc, v22, v23 src0_sel:BYTE_0 src1_sel:DWORD
	s_and_saveexec_b64 s[50:51], vcc
	s_cbranch_execz .LBB2_143
; %bb.138:                              ;   in Loop: Header=BB2_114 Depth=3
	v_cmp_ne_u16_sdwa vcc, v22, s63 src0_sel:BYTE_0 src1_sel:DWORD
	v_bfrev_b32_e32 v2, 1
	s_and_saveexec_b64 s[52:53], vcc
	s_cbranch_execz .LBB2_142
; %bb.139:                              ;   in Loop: Header=BB2_114 Depth=3
	v_and_b32_e32 v24, 0x7f, v22
	v_cmp_ne_u32_e32 vcc, s64, v24
	v_mov_b32_e32 v2, 0x7f800001
	s_and_saveexec_b64 s[54:55], vcc
	s_cbranch_execz .LBB2_141
; %bb.140:                              ;   in Loop: Header=BB2_114 Depth=3
	v_and_b32_e32 v2, 7, v22
	v_ffbh_u32_e32 v2, v2
	v_min_u32_e32 v2, 32, v2
	v_subrev_u32_e32 v26, 28, v2
	v_cmp_gt_u32_e32 vcc, 8, v24
	v_lshrrev_b32_e32 v25, 3, v24
	v_sub_u32_e32 v2, 29, v2
	v_cndmask_b32_e32 v24, 0, v26, vcc
	v_cndmask_b32_e32 v2, v25, v2, vcc
	v_lshlrev_b64 v[24:25], v24, v[22:23]
	v_lshlrev_b32_e32 v24, 20, v24
	v_lshlrev_b32_e32 v25, 24, v22
	v_and_b32_e32 v24, 0x700000, v24
	v_and_b32_e32 v25, 0x80000000, v25
	v_lshl_add_u32 v2, v2, 23, v46
	v_or3_b32 v2, v25, v2, v24
.LBB2_141:                              ;   in Loop: Header=BB2_114 Depth=3
	s_or_b64 exec, exec, s[54:55]
.LBB2_142:                              ;   in Loop: Header=BB2_114 Depth=3
	s_or_b64 exec, exec, s[52:53]
.LBB2_143:                              ;   in Loop: Header=BB2_114 Depth=3
	s_or_b64 exec, exec, s[50:51]
	v_max_f32_e32 v2, v2, v2
	v_max_f32_e32 v1, v1, v1
	;; [unrolled: 1-line block ×3, first 2 shown]
.LBB2_144:                              ;   in Loop: Header=BB2_114 Depth=3
	s_andn2_saveexec_b64 s[48:49], s[48:49]
	s_cbranch_execz .LBB2_158
; %bb.145:                              ;   in Loop: Header=BB2_114 Depth=3
	v_mov_b32_e32 v2, 0
	v_mov_b32_e32 v1, 0
	s_and_saveexec_b64 s[50:51], s[20:21]
	s_cbranch_execz .LBB2_151
; %bb.146:                              ;   in Loop: Header=BB2_114 Depth=3
	v_cmp_ne_u16_sdwa vcc, v16, s63 src0_sel:BYTE_0 src1_sel:DWORD
	v_bfrev_b32_e32 v1, 1
	s_and_saveexec_b64 s[20:21], vcc
	s_cbranch_execz .LBB2_150
; %bb.147:                              ;   in Loop: Header=BB2_114 Depth=3
	v_and_b32_e32 v24, 0x7f, v16
	v_cmp_ne_u32_e32 vcc, s64, v24
	v_mov_b32_e32 v1, 0x7f800001
	s_and_saveexec_b64 s[52:53], vcc
	s_cbranch_execz .LBB2_149
; %bb.148:                              ;   in Loop: Header=BB2_114 Depth=3
	v_and_b32_e32 v1, 7, v16
	v_ffbh_u32_e32 v1, v1
	v_min_u32_e32 v1, 32, v1
	v_subrev_u32_e32 v26, 28, v1
	v_cmp_gt_u32_e32 vcc, 8, v24
	v_lshrrev_b32_e32 v25, 3, v24
	v_sub_u32_e32 v1, 29, v1
	v_cndmask_b32_e32 v24, 0, v26, vcc
	v_cndmask_b32_e32 v1, v25, v1, vcc
	v_lshlrev_b64 v[24:25], v24, v[16:17]
	v_lshlrev_b32_e32 v17, 20, v24
	v_lshlrev_b32_e32 v24, 24, v16
	v_and_b32_e32 v17, 0x700000, v17
	v_and_b32_e32 v24, 0x80000000, v24
	v_lshl_add_u32 v1, v1, 23, v46
	v_or3_b32 v1, v24, v1, v17
.LBB2_149:                              ;   in Loop: Header=BB2_114 Depth=3
	s_or_b64 exec, exec, s[52:53]
.LBB2_150:                              ;   in Loop: Header=BB2_114 Depth=3
	s_or_b64 exec, exec, s[20:21]
.LBB2_151:                              ;   in Loop: Header=BB2_114 Depth=3
	s_or_b64 exec, exec, s[50:51]
	v_cmp_ne_u16_sdwa vcc, v22, v23 src0_sel:BYTE_0 src1_sel:DWORD
	s_and_saveexec_b64 s[20:21], vcc
	s_cbranch_execz .LBB2_157
; %bb.152:                              ;   in Loop: Header=BB2_114 Depth=3
	v_cmp_ne_u16_sdwa vcc, v22, s63 src0_sel:BYTE_0 src1_sel:DWORD
	v_bfrev_b32_e32 v2, 1
	s_and_saveexec_b64 s[50:51], vcc
	s_cbranch_execz .LBB2_156
; %bb.153:                              ;   in Loop: Header=BB2_114 Depth=3
	v_and_b32_e32 v17, 0x7f, v22
	v_cmp_ne_u32_e32 vcc, s64, v17
	v_mov_b32_e32 v2, 0x7f800001
	s_and_saveexec_b64 s[52:53], vcc
	s_cbranch_execz .LBB2_155
; %bb.154:                              ;   in Loop: Header=BB2_114 Depth=3
	v_and_b32_e32 v2, 7, v22
	v_ffbh_u32_e32 v2, v2
	v_min_u32_e32 v2, 32, v2
	v_subrev_u32_e32 v25, 28, v2
	v_cmp_gt_u32_e32 vcc, 8, v17
	v_lshrrev_b32_e32 v24, 3, v17
	v_sub_u32_e32 v2, 29, v2
	v_cndmask_b32_e32 v17, 0, v25, vcc
	v_cndmask_b32_e32 v2, v24, v2, vcc
	v_lshlrev_b64 v[24:25], v17, v[22:23]
	v_lshlrev_b32_e32 v17, 20, v24
	v_lshlrev_b32_e32 v24, 24, v22
	v_and_b32_e32 v17, 0x700000, v17
	v_and_b32_e32 v24, 0x80000000, v24
	v_lshl_add_u32 v2, v2, 23, v46
	v_or3_b32 v2, v24, v2, v17
.LBB2_155:                              ;   in Loop: Header=BB2_114 Depth=3
	s_or_b64 exec, exec, s[52:53]
.LBB2_156:                              ;   in Loop: Header=BB2_114 Depth=3
	s_or_b64 exec, exec, s[50:51]
.LBB2_157:                              ;   in Loop: Header=BB2_114 Depth=3
	s_or_b64 exec, exec, s[20:21]
	v_max_f32_e32 v2, v2, v2
	v_max_f32_e32 v1, v1, v1
	v_min_f32_e32 v32, v1, v2
.LBB2_158:                              ;   in Loop: Header=BB2_114 Depth=3
	s_or_b64 exec, exec, s[48:49]
	v_and_b32_sdwa v2, v32, s63 dst_sel:DWORD dst_unused:UNUSED_PAD src0_sel:BYTE_3 src1_sel:DWORD
	v_and_b32_e32 v40, 0x7f800000, v32
	v_mov_b32_e32 v41, v23
	v_and_b32_e32 v24, 0x7fffff, v32
	v_mov_b32_e32 v25, v23
	v_or_b32_e32 v1, 0x7e, v2
	v_cmp_ne_u64_e32 vcc, s[38:39], v[40:41]
	s_and_saveexec_b64 s[20:21], vcc
	s_xor_b64 s[48:49], exec, s[20:21]
	s_cbranch_execz .LBB2_168
; %bb.159:                              ;   in Loop: Header=BB2_114 Depth=3
	v_and_b32_e32 v40, 0x7fffffff, v32
	v_mov_b32_e32 v41, v23
	v_cmp_gt_u64_e32 vcc, s[40:41], v[40:41]
	s_and_saveexec_b64 s[50:51], vcc
	s_cbranch_execz .LBB2_167
; %bb.160:                              ;   in Loop: Header=BB2_114 Depth=3
	v_cmp_ne_u32_e32 vcc, 0, v32
	v_mov_b32_e32 v1, 0
	s_and_saveexec_b64 s[52:53], vcc
	s_cbranch_execz .LBB2_166
; %bb.161:                              ;   in Loop: Header=BB2_114 Depth=3
	v_bfe_u32 v1, v32, 23, 8
	v_sub_u32_e32 v26, 0x79, v1
	v_cmp_gt_u32_e32 vcc, s65, v1
	v_add_u32_e32 v17, 0xffffff81, v1
	v_cndmask_b32_e32 v26, 0, v26, vcc
	v_cmp_eq_u32_e32 vcc, 0, v1
	v_cndmask_b32_e32 v1, v17, v47, vcc
	v_cndmask_b32_e32 v17, v26, v30, vcc
	v_add_u32_e32 v26, 20, v17
	v_or_b32_e32 v27, 0x800000, v24
	v_lshlrev_b64 v[32:33], v26, -1
	v_cndmask_b32_e32 v24, v27, v24, vcc
	v_not_b32_e32 v27, v32
	v_not_b32_e32 v26, v33
	v_and_b32_e32 v40, v24, v27
	v_lshrrev_b64 v[24:25], v17, v[24:25]
	v_and_b32_e32 v41, 0, v26
	v_add_u32_e32 v26, 19, v17
	v_lshrrev_b32_e32 v32, 23, v24
	v_lshlrev_b64 v[26:27], v26, 1
	v_add3_u32 v32, v17, v1, v32
	v_bfe_u32 v1, v24, 20, 1
	v_add_u32_e32 v1, -1, v1
	v_cmp_eq_u64_e32 vcc, v[40:41], v[26:27]
	v_cndmask_b32_e32 v1, 0, v1, vcc
	v_add_u32_e32 v1, v1, v24
	v_and_b32_e32 v1, 0xfffff, v1
	v_add_co_u32_e32 v24, vcc, v1, v24
	v_add_u32_e32 v17, 6, v32
	v_addc_co_u32_e32 v25, vcc, 0, v25, vcc
	v_cmp_ne_u32_e32 vcc, 0, v17
                                        ; implicit-def: $vgpr1
	s_and_saveexec_b64 s[20:21], vcc
	s_xor_b64 s[20:21], exec, s[20:21]
; %bb.162:                              ;   in Loop: Header=BB2_114 Depth=3
	v_add_u32_e32 v1, 7, v32
	v_cmp_lt_u64_e32 vcc, s[42:43], v[24:25]
	v_cndmask_b32_e32 v1, v17, v1, vcc
	v_cndmask_b32_e64 v17, 0, 1, vcc
	v_lshrrev_b64 v[24:25], v17, v[24:25]
; %bb.163:                              ;   in Loop: Header=BB2_114 Depth=3
	s_andn2_saveexec_b64 s[20:21], s[20:21]
; %bb.164:                              ;   in Loop: Header=BB2_114 Depth=3
	v_bfe_u32 v1, v24, 23, 1
; %bb.165:                              ;   in Loop: Header=BB2_114 Depth=3
	s_or_b64 exec, exec, s[20:21]
	v_lshrrev_b64 v[24:25], 20, v[24:25]
	v_cmp_gt_i32_e32 vcc, 16, v1
	v_cndmask_b32_e32 v25, 0, v25, vcc
	v_cndmask_b32_e32 v24, 7, v24, vcc
	v_cmp_eq_u32_e32 vcc, 0, v1
	v_min_i32_e32 v1, 15, v1
	v_cmp_eq_u64_e64 s[20:21], 0, v[24:25]
	v_lshlrev_b32_e32 v1, 3, v1
	v_and_or_b32 v1, v24, 7, v1
	s_and_b64 s[20:21], vcc, s[20:21]
	v_cndmask_b32_e64 v1, v1, 0, s[20:21]
	v_or_b32_e32 v1, v1, v2
.LBB2_166:                              ;   in Loop: Header=BB2_114 Depth=3
	s_or_b64 exec, exec, s[52:53]
.LBB2_167:                              ;   in Loop: Header=BB2_114 Depth=3
	s_or_b64 exec, exec, s[50:51]
                                        ; implicit-def: $vgpr32
                                        ; implicit-def: $vgpr24_vgpr25
.LBB2_168:                              ;   in Loop: Header=BB2_114 Depth=3
	s_andn2_saveexec_b64 s[20:21], s[48:49]
; %bb.169:                              ;   in Loop: Header=BB2_114 Depth=3
	v_or_b32_sdwa v2, v32, s64 dst_sel:DWORD dst_unused:UNUSED_PAD src0_sel:BYTE_3 src1_sel:DWORD
	v_cmp_eq_u64_e32 vcc, 0, v[24:25]
	v_cndmask_b32_e32 v1, v2, v1, vcc
; %bb.170:                              ;   in Loop: Header=BB2_114 Depth=3
	s_or_b64 exec, exec, s[20:21]
	v_lshrrev_b16_e32 v24, 8, v16
	v_lshrrev_b16_e32 v2, 8, v22
	v_cmp_ne_u16_e32 vcc, 0, v24
                                        ; implicit-def: $vgpr17
	s_and_saveexec_b64 s[20:21], s[14:15]
	s_xor_b64 s[48:49], exec, s[20:21]
	s_cbranch_execz .LBB2_184
; %bb.171:                              ;   in Loop: Header=BB2_114 Depth=3
	v_mov_b32_e32 v25, 0
	v_mov_b32_e32 v17, 0
	s_and_saveexec_b64 s[50:51], vcc
	s_cbranch_execz .LBB2_177
; %bb.172:                              ;   in Loop: Header=BB2_114 Depth=3
	v_cmp_ne_u16_e64 s[20:21], s63, v24
	v_bfrev_b32_e32 v17, 1
	s_and_saveexec_b64 s[52:53], s[20:21]
	s_cbranch_execz .LBB2_176
; %bb.173:                              ;   in Loop: Header=BB2_114 Depth=3
	v_and_b32_e32 v32, 0x7f, v24
	v_cmp_ne_u32_e64 s[20:21], s64, v32
	v_mov_b32_e32 v17, 0x7f800001
	s_and_saveexec_b64 s[54:55], s[20:21]
	s_cbranch_execz .LBB2_175
; %bb.174:                              ;   in Loop: Header=BB2_114 Depth=3
	v_and_b32_e32 v17, 7, v24
	v_ffbh_u32_e32 v26, v17
	v_min_u32_e32 v36, 32, v26
	v_subrev_u32_e32 v26, 28, v36
	v_lshlrev_b64 v[26:27], v26, v[24:25]
	v_lshrrev_b32_e32 v33, 3, v32
	v_sub_u32_e32 v24, 29, v36
	v_and_b32_e32 v26, 7, v26
	v_cmp_gt_u32_e64 s[20:21], 8, v32
	v_cndmask_b32_e64 v24, v33, v24, s[20:21]
	v_cndmask_b32_e64 v17, v17, v26, s[20:21]
	v_lshlrev_b32_e32 v26, 16, v16
	v_lshlrev_b32_e32 v17, 20, v17
	v_and_b32_e32 v26, 0x80000000, v26
	v_lshl_add_u32 v24, v24, 23, v46
	v_or3_b32 v17, v26, v24, v17
.LBB2_175:                              ;   in Loop: Header=BB2_114 Depth=3
	s_or_b64 exec, exec, s[54:55]
.LBB2_176:                              ;   in Loop: Header=BB2_114 Depth=3
	s_or_b64 exec, exec, s[52:53]
.LBB2_177:                              ;   in Loop: Header=BB2_114 Depth=3
	s_or_b64 exec, exec, s[50:51]
	v_cmp_ne_u16_e64 s[20:21], 0, v2
	s_and_saveexec_b64 s[50:51], s[20:21]
	s_cbranch_execz .LBB2_183
; %bb.178:                              ;   in Loop: Header=BB2_114 Depth=3
	v_cmp_ne_u16_e64 s[20:21], s63, v2
	v_bfrev_b32_e32 v25, 1
	s_and_saveexec_b64 s[52:53], s[20:21]
	s_cbranch_execz .LBB2_182
; %bb.179:                              ;   in Loop: Header=BB2_114 Depth=3
	v_and_b32_e32 v24, 0x7f, v2
	v_cmp_ne_u32_e64 s[20:21], s64, v24
	v_mov_b32_e32 v25, 0x7f800001
	s_and_saveexec_b64 s[54:55], s[20:21]
	s_cbranch_execz .LBB2_181
; %bb.180:                              ;   in Loop: Header=BB2_114 Depth=3
	v_and_b32_e32 v25, 7, v2
	v_ffbh_u32_e32 v26, v25
	v_min_u32_e32 v33, 32, v26
	v_subrev_u32_e32 v26, 28, v33
	v_lshlrev_b64 v[26:27], v26, v[2:3]
	v_lshrrev_b32_e32 v32, 3, v24
	v_sub_u32_e32 v2, 29, v33
	v_and_b32_e32 v26, 7, v26
	v_cmp_gt_u32_e64 s[20:21], 8, v24
	v_cndmask_b32_e64 v2, v32, v2, s[20:21]
	v_cndmask_b32_e64 v24, v25, v26, s[20:21]
	v_lshlrev_b32_e32 v25, 16, v22
	v_lshlrev_b32_e32 v24, 20, v24
	v_and_b32_e32 v25, 0x80000000, v25
	v_lshl_add_u32 v2, v2, 23, v46
	v_or3_b32 v25, v25, v2, v24
.LBB2_181:                              ;   in Loop: Header=BB2_114 Depth=3
	s_or_b64 exec, exec, s[54:55]
.LBB2_182:                              ;   in Loop: Header=BB2_114 Depth=3
	s_or_b64 exec, exec, s[52:53]
.LBB2_183:                              ;   in Loop: Header=BB2_114 Depth=3
	s_or_b64 exec, exec, s[50:51]
	v_max_f32_e32 v2, v25, v25
	v_max_f32_e32 v17, v17, v17
	;; [unrolled: 1-line block ×3, first 2 shown]
                                        ; implicit-def: $vgpr2
                                        ; implicit-def: $vgpr24
.LBB2_184:                              ;   in Loop: Header=BB2_114 Depth=3
	s_andn2_saveexec_b64 s[20:21], s[48:49]
	s_cbranch_execz .LBB2_198
; %bb.185:                              ;   in Loop: Header=BB2_114 Depth=3
	v_mov_b32_e32 v25, 0
	v_mov_b32_e32 v17, 0
	s_and_saveexec_b64 s[48:49], vcc
	s_cbranch_execz .LBB2_191
; %bb.186:                              ;   in Loop: Header=BB2_114 Depth=3
	v_cmp_ne_u16_e32 vcc, s63, v24
	v_bfrev_b32_e32 v17, 1
	s_and_saveexec_b64 s[50:51], vcc
	s_cbranch_execz .LBB2_190
; %bb.187:                              ;   in Loop: Header=BB2_114 Depth=3
	v_and_b32_e32 v32, 0x7f, v24
	v_cmp_ne_u32_e32 vcc, s64, v32
	v_mov_b32_e32 v17, 0x7f800001
	s_and_saveexec_b64 s[52:53], vcc
	s_cbranch_execz .LBB2_189
; %bb.188:                              ;   in Loop: Header=BB2_114 Depth=3
	v_and_b32_e32 v17, 7, v24
	v_ffbh_u32_e32 v26, v17
	v_min_u32_e32 v36, 32, v26
	v_subrev_u32_e32 v26, 28, v36
	v_lshlrev_b64 v[26:27], v26, v[24:25]
	v_lshrrev_b32_e32 v33, 3, v32
	v_sub_u32_e32 v24, 29, v36
	v_and_b32_e32 v26, 7, v26
	v_cmp_gt_u32_e32 vcc, 8, v32
	v_cndmask_b32_e32 v24, v33, v24, vcc
	v_cndmask_b32_e32 v17, v17, v26, vcc
	v_lshlrev_b32_e32 v26, 16, v16
	v_lshlrev_b32_e32 v17, 20, v17
	v_and_b32_e32 v26, 0x80000000, v26
	v_lshl_add_u32 v24, v24, 23, v46
	v_or3_b32 v17, v26, v24, v17
.LBB2_189:                              ;   in Loop: Header=BB2_114 Depth=3
	s_or_b64 exec, exec, s[52:53]
.LBB2_190:                              ;   in Loop: Header=BB2_114 Depth=3
	s_or_b64 exec, exec, s[50:51]
.LBB2_191:                              ;   in Loop: Header=BB2_114 Depth=3
	s_or_b64 exec, exec, s[48:49]
	v_cmp_ne_u16_e32 vcc, 0, v2
	s_and_saveexec_b64 s[48:49], vcc
	s_cbranch_execz .LBB2_197
; %bb.192:                              ;   in Loop: Header=BB2_114 Depth=3
	v_cmp_ne_u16_e32 vcc, s63, v2
	v_bfrev_b32_e32 v25, 1
	s_and_saveexec_b64 s[50:51], vcc
	s_cbranch_execz .LBB2_196
; %bb.193:                              ;   in Loop: Header=BB2_114 Depth=3
	v_and_b32_e32 v24, 0x7f, v2
	v_cmp_ne_u32_e32 vcc, s64, v24
	v_mov_b32_e32 v25, 0x7f800001
	s_and_saveexec_b64 s[52:53], vcc
	s_cbranch_execz .LBB2_195
; %bb.194:                              ;   in Loop: Header=BB2_114 Depth=3
	v_and_b32_e32 v25, 7, v2
	v_ffbh_u32_e32 v26, v25
	v_min_u32_e32 v33, 32, v26
	v_subrev_u32_e32 v26, 28, v33
	v_lshlrev_b64 v[26:27], v26, v[2:3]
	v_lshrrev_b32_e32 v32, 3, v24
	v_sub_u32_e32 v2, 29, v33
	v_and_b32_e32 v26, 7, v26
	v_cmp_gt_u32_e32 vcc, 8, v24
	v_cndmask_b32_e32 v2, v32, v2, vcc
	v_cndmask_b32_e32 v24, v25, v26, vcc
	v_lshlrev_b32_e32 v25, 16, v22
	v_lshlrev_b32_e32 v24, 20, v24
	v_and_b32_e32 v25, 0x80000000, v25
	v_lshl_add_u32 v2, v2, 23, v46
	v_or3_b32 v25, v25, v2, v24
.LBB2_195:                              ;   in Loop: Header=BB2_114 Depth=3
	s_or_b64 exec, exec, s[52:53]
.LBB2_196:                              ;   in Loop: Header=BB2_114 Depth=3
	s_or_b64 exec, exec, s[50:51]
.LBB2_197:                              ;   in Loop: Header=BB2_114 Depth=3
	s_or_b64 exec, exec, s[48:49]
	v_max_f32_e32 v2, v25, v25
	v_max_f32_e32 v17, v17, v17
	v_min_f32_e32 v17, v17, v2
.LBB2_198:                              ;   in Loop: Header=BB2_114 Depth=3
	s_or_b64 exec, exec, s[20:21]
	v_and_b32_sdwa v2, v17, s63 dst_sel:DWORD dst_unused:UNUSED_PAD src0_sel:BYTE_3 src1_sel:DWORD
	v_and_b32_e32 v26, 0x7f800000, v17
	v_mov_b32_e32 v27, v23
	v_and_b32_e32 v24, 0x7fffff, v17
	v_mov_b32_e32 v25, v23
	v_or_b32_e32 v32, 0x7e, v2
	v_cmp_ne_u64_e32 vcc, s[38:39], v[26:27]
	s_and_saveexec_b64 s[20:21], vcc
	s_xor_b64 s[48:49], exec, s[20:21]
	s_cbranch_execz .LBB2_208
; %bb.199:                              ;   in Loop: Header=BB2_114 Depth=3
	v_and_b32_e32 v26, 0x7fffffff, v17
	v_mov_b32_e32 v27, v23
	v_cmp_gt_u64_e32 vcc, s[40:41], v[26:27]
	s_and_saveexec_b64 s[50:51], vcc
	s_cbranch_execz .LBB2_207
; %bb.200:                              ;   in Loop: Header=BB2_114 Depth=3
	v_cmp_ne_u32_e32 vcc, 0, v17
	v_mov_b32_e32 v32, 0
	s_and_saveexec_b64 s[52:53], vcc
	s_cbranch_execz .LBB2_206
; %bb.201:                              ;   in Loop: Header=BB2_114 Depth=3
	v_bfe_u32 v17, v17, 23, 8
	v_sub_u32_e32 v27, 0x79, v17
	v_cmp_gt_u32_e32 vcc, s65, v17
	v_cndmask_b32_e32 v27, 0, v27, vcc
	v_cmp_eq_u32_e32 vcc, 0, v17
	v_add_u32_e32 v26, 0xffffff81, v17
	v_cndmask_b32_e32 v33, v27, v30, vcc
	v_cndmask_b32_e32 v17, v26, v47, vcc
	v_add_u32_e32 v26, 20, v33
	v_or_b32_e32 v32, 0x800000, v24
	v_lshlrev_b64 v[26:27], v26, -1
	v_cndmask_b32_e32 v24, v32, v24, vcc
	v_not_b32_e32 v26, v26
	v_and_b32_e32 v26, v24, v26
	v_add_u32_e32 v32, 19, v33
	v_lshrrev_b64 v[24:25], v33, v[24:25]
	v_not_b32_e32 v27, v27
	v_lshlrev_b64 v[40:41], v32, 1
	v_lshrrev_b32_e32 v32, 23, v24
	v_and_b32_e32 v27, 0, v27
	v_add3_u32 v33, v33, v17, v32
	v_bfe_u32 v17, v24, 20, 1
	v_add_u32_e32 v17, -1, v17
	v_cmp_eq_u64_e32 vcc, v[26:27], v[40:41]
	v_cndmask_b32_e32 v17, 0, v17, vcc
	v_add_u32_e32 v17, v17, v24
	v_and_b32_e32 v17, 0xfffff, v17
	v_add_co_u32_e32 v24, vcc, v17, v24
	v_add_u32_e32 v32, 6, v33
	v_addc_co_u32_e32 v25, vcc, 0, v25, vcc
	v_cmp_ne_u32_e32 vcc, 0, v32
                                        ; implicit-def: $vgpr17
	s_and_saveexec_b64 s[20:21], vcc
	s_xor_b64 s[20:21], exec, s[20:21]
; %bb.202:                              ;   in Loop: Header=BB2_114 Depth=3
	v_cmp_lt_u64_e32 vcc, s[42:43], v[24:25]
	v_add_u32_e32 v17, 7, v33
	v_cndmask_b32_e64 v26, 0, 1, vcc
	v_cndmask_b32_e32 v17, v32, v17, vcc
	v_lshrrev_b64 v[24:25], v26, v[24:25]
; %bb.203:                              ;   in Loop: Header=BB2_114 Depth=3
	s_andn2_saveexec_b64 s[20:21], s[20:21]
; %bb.204:                              ;   in Loop: Header=BB2_114 Depth=3
	v_bfe_u32 v17, v24, 23, 1
; %bb.205:                              ;   in Loop: Header=BB2_114 Depth=3
	s_or_b64 exec, exec, s[20:21]
	v_lshrrev_b64 v[24:25], 20, v[24:25]
	v_cmp_gt_i32_e32 vcc, 16, v17
	v_cndmask_b32_e32 v25, 0, v25, vcc
	v_cndmask_b32_e32 v24, 7, v24, vcc
	v_cmp_eq_u32_e32 vcc, 0, v17
	v_min_i32_e32 v17, 15, v17
	v_cmp_eq_u64_e64 s[20:21], 0, v[24:25]
	v_lshlrev_b32_e32 v17, 3, v17
	v_and_or_b32 v17, v24, 7, v17
	s_and_b64 s[20:21], vcc, s[20:21]
	v_cndmask_b32_e64 v17, v17, 0, s[20:21]
	v_or_b32_e32 v32, v17, v2
.LBB2_206:                              ;   in Loop: Header=BB2_114 Depth=3
	s_or_b64 exec, exec, s[52:53]
.LBB2_207:                              ;   in Loop: Header=BB2_114 Depth=3
	s_or_b64 exec, exec, s[50:51]
                                        ; implicit-def: $vgpr17
                                        ; implicit-def: $vgpr24_vgpr25
.LBB2_208:                              ;   in Loop: Header=BB2_114 Depth=3
	s_andn2_saveexec_b64 s[20:21], s[48:49]
; %bb.209:                              ;   in Loop: Header=BB2_114 Depth=3
	v_or_b32_sdwa v2, v17, s64 dst_sel:DWORD dst_unused:UNUSED_PAD src0_sel:BYTE_3 src1_sel:DWORD
	v_cmp_eq_u64_e32 vcc, 0, v[24:25]
	v_cndmask_b32_e32 v32, v2, v32, vcc
; %bb.210:                              ;   in Loop: Header=BB2_114 Depth=3
	s_or_b64 exec, exec, s[20:21]
	v_lshrrev_b32_e32 v24, 16, v16
	v_lshrrev_b32_e32 v2, 16, v22
	v_cmp_ne_u16_sdwa s[20:21], v24, v23 src0_sel:BYTE_0 src1_sel:DWORD
                                        ; implicit-def: $vgpr17
	s_and_saveexec_b64 vcc, s[14:15]
	s_xor_b64 s[48:49], exec, vcc
	s_cbranch_execz .LBB2_224
; %bb.211:                              ;   in Loop: Header=BB2_114 Depth=3
	v_mov_b32_e32 v25, 0
	v_mov_b32_e32 v17, 0
	s_and_saveexec_b64 s[50:51], s[20:21]
	s_cbranch_execz .LBB2_217
; %bb.212:                              ;   in Loop: Header=BB2_114 Depth=3
	v_cmp_ne_u16_sdwa vcc, v24, s63 src0_sel:BYTE_0 src1_sel:DWORD
	v_bfrev_b32_e32 v17, 1
	s_and_saveexec_b64 s[52:53], vcc
	s_cbranch_execz .LBB2_216
; %bb.213:                              ;   in Loop: Header=BB2_114 Depth=3
	v_bfe_u32 v33, v16, 16, 7
	v_cmp_ne_u32_e32 vcc, s64, v33
	v_mov_b32_e32 v17, 0x7f800001
	s_and_saveexec_b64 s[54:55], vcc
	s_cbranch_execz .LBB2_215
; %bb.214:                              ;   in Loop: Header=BB2_114 Depth=3
	v_and_b32_e32 v17, 7, v24
	v_ffbh_u32_e32 v26, v17
	v_min_u32_e32 v37, 32, v26
	v_subrev_u32_e32 v26, 28, v37
	v_lshlrev_b64 v[26:27], v26, v[24:25]
	v_lshrrev_b32_e32 v36, 3, v33
	v_sub_u32_e32 v27, 29, v37
	v_and_b32_e32 v26, 7, v26
	v_cmp_gt_u32_e32 vcc, 8, v33
	v_cndmask_b32_e32 v27, v36, v27, vcc
	v_cndmask_b32_e32 v17, v17, v26, vcc
	v_lshlrev_b32_e32 v24, 24, v24
	v_lshlrev_b32_e32 v17, 20, v17
	v_and_b32_e32 v24, 0x80000000, v24
	v_lshl_add_u32 v26, v27, 23, v46
	v_or3_b32 v17, v24, v26, v17
.LBB2_215:                              ;   in Loop: Header=BB2_114 Depth=3
	s_or_b64 exec, exec, s[54:55]
.LBB2_216:                              ;   in Loop: Header=BB2_114 Depth=3
	s_or_b64 exec, exec, s[52:53]
.LBB2_217:                              ;   in Loop: Header=BB2_114 Depth=3
	s_or_b64 exec, exec, s[50:51]
	v_and_b32_sdwa v24, v22, s62 dst_sel:DWORD dst_unused:UNUSED_PAD src0_sel:WORD_1 src1_sel:DWORD
	v_cmp_ne_u16_e32 vcc, 0, v24
	s_and_saveexec_b64 s[50:51], vcc
	s_cbranch_execz .LBB2_223
; %bb.218:                              ;   in Loop: Header=BB2_114 Depth=3
	v_cmp_ne_u16_e32 vcc, s63, v24
	v_bfrev_b32_e32 v25, 1
	s_and_saveexec_b64 s[52:53], vcc
	s_cbranch_execz .LBB2_222
; %bb.219:                              ;   in Loop: Header=BB2_114 Depth=3
	v_bfe_u32 v24, v22, 16, 7
	v_cmp_ne_u32_e32 vcc, s64, v24
	v_mov_b32_e32 v25, 0x7f800001
	s_and_saveexec_b64 s[54:55], vcc
	s_cbranch_execz .LBB2_221
; %bb.220:                              ;   in Loop: Header=BB2_114 Depth=3
	v_and_b32_e32 v25, 7, v2
	v_ffbh_u32_e32 v26, v25
	v_min_u32_e32 v36, 32, v26
	v_subrev_u32_e32 v26, 28, v36
	v_lshlrev_b64 v[26:27], v26, v[2:3]
	v_lshrrev_b32_e32 v33, 3, v24
	v_sub_u32_e32 v2, 29, v36
	v_and_b32_e32 v26, 7, v26
	v_cmp_gt_u32_e32 vcc, 8, v24
	v_cndmask_b32_e32 v2, v33, v2, vcc
	v_cndmask_b32_e32 v24, v25, v26, vcc
	v_lshlrev_b32_sdwa v25, v6, v22 dst_sel:DWORD dst_unused:UNUSED_PAD src0_sel:DWORD src1_sel:WORD_1
	v_lshlrev_b32_e32 v24, 20, v24
	v_and_b32_e32 v25, 0x80000000, v25
	v_lshl_add_u32 v2, v2, 23, v46
	v_or3_b32 v25, v25, v2, v24
.LBB2_221:                              ;   in Loop: Header=BB2_114 Depth=3
	s_or_b64 exec, exec, s[54:55]
.LBB2_222:                              ;   in Loop: Header=BB2_114 Depth=3
	s_or_b64 exec, exec, s[52:53]
.LBB2_223:                              ;   in Loop: Header=BB2_114 Depth=3
	s_or_b64 exec, exec, s[50:51]
	v_max_f32_e32 v2, v25, v25
	v_max_f32_e32 v17, v17, v17
	;; [unrolled: 1-line block ×3, first 2 shown]
                                        ; implicit-def: $vgpr24
                                        ; implicit-def: $vgpr2
.LBB2_224:                              ;   in Loop: Header=BB2_114 Depth=3
	s_andn2_saveexec_b64 s[48:49], s[48:49]
	s_cbranch_execz .LBB2_238
; %bb.225:                              ;   in Loop: Header=BB2_114 Depth=3
	v_mov_b32_e32 v25, 0
	v_mov_b32_e32 v17, 0
	s_and_saveexec_b64 s[50:51], s[20:21]
	s_cbranch_execz .LBB2_231
; %bb.226:                              ;   in Loop: Header=BB2_114 Depth=3
	v_cmp_ne_u16_sdwa vcc, v24, s63 src0_sel:BYTE_0 src1_sel:DWORD
	v_bfrev_b32_e32 v17, 1
	s_and_saveexec_b64 s[20:21], vcc
	s_cbranch_execz .LBB2_230
; %bb.227:                              ;   in Loop: Header=BB2_114 Depth=3
	v_bfe_u32 v33, v16, 16, 7
	v_cmp_ne_u32_e32 vcc, s64, v33
	v_mov_b32_e32 v17, 0x7f800001
	s_and_saveexec_b64 s[52:53], vcc
	s_cbranch_execz .LBB2_229
; %bb.228:                              ;   in Loop: Header=BB2_114 Depth=3
	v_and_b32_e32 v17, 7, v24
	v_ffbh_u32_e32 v26, v17
	v_min_u32_e32 v37, 32, v26
	v_subrev_u32_e32 v26, 28, v37
	v_lshlrev_b64 v[26:27], v26, v[24:25]
	v_lshrrev_b32_e32 v36, 3, v33
	v_sub_u32_e32 v27, 29, v37
	v_and_b32_e32 v26, 7, v26
	v_cmp_gt_u32_e32 vcc, 8, v33
	v_cndmask_b32_e32 v27, v36, v27, vcc
	v_cndmask_b32_e32 v17, v17, v26, vcc
	v_lshlrev_b32_e32 v24, 24, v24
	v_lshlrev_b32_e32 v17, 20, v17
	v_and_b32_e32 v24, 0x80000000, v24
	v_lshl_add_u32 v26, v27, 23, v46
	v_or3_b32 v17, v24, v26, v17
.LBB2_229:                              ;   in Loop: Header=BB2_114 Depth=3
	s_or_b64 exec, exec, s[52:53]
.LBB2_230:                              ;   in Loop: Header=BB2_114 Depth=3
	s_or_b64 exec, exec, s[20:21]
.LBB2_231:                              ;   in Loop: Header=BB2_114 Depth=3
	s_or_b64 exec, exec, s[50:51]
	v_and_b32_sdwa v24, v22, s62 dst_sel:DWORD dst_unused:UNUSED_PAD src0_sel:WORD_1 src1_sel:DWORD
	v_cmp_ne_u16_e32 vcc, 0, v24
	s_and_saveexec_b64 s[20:21], vcc
	s_cbranch_execz .LBB2_237
; %bb.232:                              ;   in Loop: Header=BB2_114 Depth=3
	v_cmp_ne_u16_e32 vcc, s63, v24
	v_bfrev_b32_e32 v25, 1
	s_and_saveexec_b64 s[50:51], vcc
	s_cbranch_execz .LBB2_236
; %bb.233:                              ;   in Loop: Header=BB2_114 Depth=3
	v_bfe_u32 v24, v22, 16, 7
	v_cmp_ne_u32_e32 vcc, s64, v24
	v_mov_b32_e32 v25, 0x7f800001
	s_and_saveexec_b64 s[52:53], vcc
	s_cbranch_execz .LBB2_235
; %bb.234:                              ;   in Loop: Header=BB2_114 Depth=3
	v_and_b32_e32 v25, 7, v2
	v_ffbh_u32_e32 v26, v25
	v_min_u32_e32 v36, 32, v26
	v_subrev_u32_e32 v26, 28, v36
	v_lshlrev_b64 v[26:27], v26, v[2:3]
	v_lshrrev_b32_e32 v33, 3, v24
	v_sub_u32_e32 v2, 29, v36
	v_and_b32_e32 v26, 7, v26
	v_cmp_gt_u32_e32 vcc, 8, v24
	v_cndmask_b32_e32 v2, v33, v2, vcc
	v_cndmask_b32_e32 v24, v25, v26, vcc
	v_lshlrev_b32_sdwa v25, v6, v22 dst_sel:DWORD dst_unused:UNUSED_PAD src0_sel:DWORD src1_sel:WORD_1
	v_lshlrev_b32_e32 v24, 20, v24
	v_and_b32_e32 v25, 0x80000000, v25
	v_lshl_add_u32 v2, v2, 23, v46
	v_or3_b32 v25, v25, v2, v24
.LBB2_235:                              ;   in Loop: Header=BB2_114 Depth=3
	s_or_b64 exec, exec, s[52:53]
.LBB2_236:                              ;   in Loop: Header=BB2_114 Depth=3
	s_or_b64 exec, exec, s[50:51]
.LBB2_237:                              ;   in Loop: Header=BB2_114 Depth=3
	s_or_b64 exec, exec, s[20:21]
	v_max_f32_e32 v2, v25, v25
	v_max_f32_e32 v17, v17, v17
	v_min_f32_e32 v17, v17, v2
.LBB2_238:                              ;   in Loop: Header=BB2_114 Depth=3
	s_or_b64 exec, exec, s[48:49]
	v_and_b32_sdwa v2, v17, s63 dst_sel:DWORD dst_unused:UNUSED_PAD src0_sel:BYTE_3 src1_sel:DWORD
	v_and_b32_e32 v26, 0x7f800000, v17
	v_mov_b32_e32 v27, v23
	v_and_b32_e32 v24, 0x7fffff, v17
	v_mov_b32_e32 v25, v23
	v_or_b32_e32 v33, 0x7e, v2
	v_cmp_ne_u64_e32 vcc, s[38:39], v[26:27]
	s_and_saveexec_b64 s[20:21], vcc
	s_xor_b64 s[48:49], exec, s[20:21]
	s_cbranch_execz .LBB2_248
; %bb.239:                              ;   in Loop: Header=BB2_114 Depth=3
	v_and_b32_e32 v26, 0x7fffffff, v17
	v_mov_b32_e32 v27, v23
	v_cmp_gt_u64_e32 vcc, s[40:41], v[26:27]
	s_and_saveexec_b64 s[50:51], vcc
	s_cbranch_execz .LBB2_247
; %bb.240:                              ;   in Loop: Header=BB2_114 Depth=3
	v_cmp_ne_u32_e32 vcc, 0, v17
	v_mov_b32_e32 v33, 0
	s_and_saveexec_b64 s[52:53], vcc
	s_cbranch_execz .LBB2_246
; %bb.241:                              ;   in Loop: Header=BB2_114 Depth=3
	v_bfe_u32 v17, v17, 23, 8
	v_sub_u32_e32 v27, 0x79, v17
	v_cmp_gt_u32_e32 vcc, s65, v17
	v_cndmask_b32_e32 v27, 0, v27, vcc
	v_cmp_eq_u32_e32 vcc, 0, v17
	v_add_u32_e32 v26, 0xffffff81, v17
	v_cndmask_b32_e32 v36, v27, v30, vcc
	v_cndmask_b32_e32 v17, v26, v47, vcc
	v_add_u32_e32 v26, 20, v36
	v_or_b32_e32 v33, 0x800000, v24
	v_lshlrev_b64 v[26:27], v26, -1
	v_cndmask_b32_e32 v24, v33, v24, vcc
	v_not_b32_e32 v26, v26
	v_and_b32_e32 v26, v24, v26
	v_add_u32_e32 v33, 19, v36
	v_lshrrev_b64 v[24:25], v36, v[24:25]
	v_not_b32_e32 v27, v27
	v_lshlrev_b64 v[40:41], v33, 1
	v_lshrrev_b32_e32 v33, 23, v24
	v_and_b32_e32 v27, 0, v27
	v_add3_u32 v62, v36, v17, v33
	v_bfe_u32 v17, v24, 20, 1
	v_add_u32_e32 v17, -1, v17
	v_cmp_eq_u64_e32 vcc, v[26:27], v[40:41]
	v_cndmask_b32_e32 v17, 0, v17, vcc
	v_add_u32_e32 v17, v17, v24
	v_and_b32_e32 v17, 0xfffff, v17
	v_add_co_u32_e32 v24, vcc, v17, v24
	v_add_u32_e32 v33, 6, v62
	v_addc_co_u32_e32 v25, vcc, 0, v25, vcc
	v_cmp_ne_u32_e32 vcc, 0, v33
                                        ; implicit-def: $vgpr17
	s_and_saveexec_b64 s[20:21], vcc
	s_xor_b64 s[20:21], exec, s[20:21]
; %bb.242:                              ;   in Loop: Header=BB2_114 Depth=3
	v_cmp_lt_u64_e32 vcc, s[42:43], v[24:25]
	v_add_u32_e32 v17, 7, v62
	v_cndmask_b32_e64 v26, 0, 1, vcc
	v_cndmask_b32_e32 v17, v33, v17, vcc
	v_lshrrev_b64 v[24:25], v26, v[24:25]
; %bb.243:                              ;   in Loop: Header=BB2_114 Depth=3
	s_andn2_saveexec_b64 s[20:21], s[20:21]
; %bb.244:                              ;   in Loop: Header=BB2_114 Depth=3
	v_bfe_u32 v17, v24, 23, 1
; %bb.245:                              ;   in Loop: Header=BB2_114 Depth=3
	s_or_b64 exec, exec, s[20:21]
	v_lshrrev_b64 v[24:25], 20, v[24:25]
	v_cmp_gt_i32_e32 vcc, 16, v17
	v_cndmask_b32_e32 v25, 0, v25, vcc
	v_cndmask_b32_e32 v24, 7, v24, vcc
	v_cmp_eq_u32_e32 vcc, 0, v17
	v_min_i32_e32 v17, 15, v17
	v_cmp_eq_u64_e64 s[20:21], 0, v[24:25]
	v_lshlrev_b32_e32 v17, 3, v17
	v_and_or_b32 v17, v24, 7, v17
	s_and_b64 s[20:21], vcc, s[20:21]
	v_cndmask_b32_e64 v17, v17, 0, s[20:21]
	v_or_b32_e32 v33, v17, v2
.LBB2_246:                              ;   in Loop: Header=BB2_114 Depth=3
	s_or_b64 exec, exec, s[52:53]
.LBB2_247:                              ;   in Loop: Header=BB2_114 Depth=3
	s_or_b64 exec, exec, s[50:51]
                                        ; implicit-def: $vgpr17
                                        ; implicit-def: $vgpr24_vgpr25
.LBB2_248:                              ;   in Loop: Header=BB2_114 Depth=3
	s_andn2_saveexec_b64 s[20:21], s[48:49]
; %bb.249:                              ;   in Loop: Header=BB2_114 Depth=3
	v_or_b32_sdwa v2, v17, s64 dst_sel:DWORD dst_unused:UNUSED_PAD src0_sel:BYTE_3 src1_sel:DWORD
	v_cmp_eq_u64_e32 vcc, 0, v[24:25]
	v_cndmask_b32_e32 v33, v2, v33, vcc
; %bb.250:                              ;   in Loop: Header=BB2_114 Depth=3
	s_or_b64 exec, exec, s[20:21]
	v_lshrrev_b32_e32 v24, 24, v16
	v_lshrrev_b32_e32 v2, 24, v22
	v_cmp_lt_u32_e32 vcc, s66, v16
                                        ; implicit-def: $vgpr17
	s_and_saveexec_b64 s[20:21], s[14:15]
	s_xor_b64 s[48:49], exec, s[20:21]
	s_cbranch_execz .LBB2_264
; %bb.251:                              ;   in Loop: Header=BB2_114 Depth=3
	v_mov_b32_e32 v25, 0
	v_mov_b32_e32 v17, 0
	s_and_saveexec_b64 s[50:51], vcc
	s_cbranch_execz .LBB2_257
; %bb.252:                              ;   in Loop: Header=BB2_114 Depth=3
	v_cmp_ne_u32_e64 s[20:21], s63, v24
	v_bfrev_b32_e32 v17, 1
	s_and_saveexec_b64 s[52:53], s[20:21]
	s_cbranch_execz .LBB2_256
; %bb.253:                              ;   in Loop: Header=BB2_114 Depth=3
	v_bfe_u32 v16, v16, 24, 7
	v_cmp_ne_u32_e64 s[20:21], s64, v16
	v_mov_b32_e32 v17, 0x7f800001
	s_and_saveexec_b64 s[54:55], s[20:21]
	s_cbranch_execz .LBB2_255
; %bb.254:                              ;   in Loop: Header=BB2_114 Depth=3
	v_and_b32_e32 v17, 7, v24
	v_ffbh_u32_e32 v26, v17
	v_min_u32_e32 v37, 32, v26
	v_subrev_u32_e32 v26, 28, v37
	v_lshlrev_b64 v[26:27], v26, v[24:25]
	v_lshrrev_b32_e32 v36, 3, v16
	v_sub_u32_e32 v27, 29, v37
	v_and_b32_e32 v26, 7, v26
	v_cmp_gt_u32_e64 s[20:21], 8, v16
	v_cndmask_b32_e64 v16, v36, v27, s[20:21]
	v_cndmask_b32_e64 v17, v17, v26, s[20:21]
	v_lshlrev_b32_e32 v24, 24, v24
	v_lshlrev_b32_e32 v17, 20, v17
	v_and_b32_e32 v24, 0x80000000, v24
	v_lshl_add_u32 v16, v16, 23, v46
	v_or3_b32 v17, v24, v16, v17
.LBB2_255:                              ;   in Loop: Header=BB2_114 Depth=3
	s_or_b64 exec, exec, s[54:55]
.LBB2_256:                              ;   in Loop: Header=BB2_114 Depth=3
	s_or_b64 exec, exec, s[52:53]
.LBB2_257:                              ;   in Loop: Header=BB2_114 Depth=3
	s_or_b64 exec, exec, s[50:51]
	v_cmp_lt_u32_e64 s[20:21], s66, v22
	s_and_saveexec_b64 s[50:51], s[20:21]
	s_cbranch_execz .LBB2_263
; %bb.258:                              ;   in Loop: Header=BB2_114 Depth=3
	v_cmp_ne_u32_sdwa s[20:21], v22, s63 src0_sel:BYTE_3 src1_sel:DWORD
	v_bfrev_b32_e32 v25, 1
	s_and_saveexec_b64 s[52:53], s[20:21]
	s_cbranch_execz .LBB2_262
; %bb.259:                              ;   in Loop: Header=BB2_114 Depth=3
	v_bfe_u32 v16, v22, 24, 7
	v_cmp_ne_u32_e64 s[20:21], s64, v16
	v_mov_b32_e32 v25, 0x7f800001
	s_and_saveexec_b64 s[54:55], s[20:21]
	s_cbranch_execz .LBB2_261
; %bb.260:                              ;   in Loop: Header=BB2_114 Depth=3
	v_and_b32_e32 v26, 7, v2
	v_ffbh_u32_e32 v24, v26
	v_min_u32_e32 v36, 32, v24
	v_subrev_u32_e32 v24, 28, v36
	v_lshlrev_b64 v[24:25], v24, v[2:3]
	v_lshrrev_b32_e32 v27, 3, v16
	v_sub_u32_e32 v2, 29, v36
	v_and_b32_e32 v24, 7, v24
	v_cmp_gt_u32_e64 s[20:21], 8, v16
	v_cndmask_b32_e64 v2, v27, v2, s[20:21]
	v_cndmask_b32_e64 v16, v26, v24, s[20:21]
	v_lshlrev_b32_sdwa v22, v6, v22 dst_sel:DWORD dst_unused:UNUSED_PAD src0_sel:DWORD src1_sel:BYTE_3
	v_lshlrev_b32_e32 v16, 20, v16
	v_and_b32_e32 v22, 0x80000000, v22
	v_lshl_add_u32 v2, v2, 23, v46
	v_or3_b32 v25, v22, v2, v16
.LBB2_261:                              ;   in Loop: Header=BB2_114 Depth=3
	s_or_b64 exec, exec, s[54:55]
.LBB2_262:                              ;   in Loop: Header=BB2_114 Depth=3
	s_or_b64 exec, exec, s[52:53]
.LBB2_263:                              ;   in Loop: Header=BB2_114 Depth=3
	s_or_b64 exec, exec, s[50:51]
	v_max_f32_e32 v2, v25, v25
	v_max_f32_e32 v16, v17, v17
	;; [unrolled: 1-line block ×3, first 2 shown]
                                        ; implicit-def: $vgpr24
                                        ; implicit-def: $vgpr2
.LBB2_264:                              ;   in Loop: Header=BB2_114 Depth=3
	s_andn2_saveexec_b64 s[20:21], s[48:49]
	s_cbranch_execz .LBB2_278
; %bb.265:                              ;   in Loop: Header=BB2_114 Depth=3
	v_mov_b32_e32 v25, 0
	v_mov_b32_e32 v17, 0
	s_and_saveexec_b64 s[48:49], vcc
	s_cbranch_execz .LBB2_271
; %bb.266:                              ;   in Loop: Header=BB2_114 Depth=3
	v_cmp_ne_u32_e32 vcc, s63, v24
	v_bfrev_b32_e32 v17, 1
	s_and_saveexec_b64 s[50:51], vcc
	s_cbranch_execz .LBB2_270
; %bb.267:                              ;   in Loop: Header=BB2_114 Depth=3
	v_bfe_u32 v16, v16, 24, 7
	v_cmp_ne_u32_e32 vcc, s64, v16
	v_mov_b32_e32 v17, 0x7f800001
	s_and_saveexec_b64 s[52:53], vcc
	s_cbranch_execz .LBB2_269
; %bb.268:                              ;   in Loop: Header=BB2_114 Depth=3
	v_and_b32_e32 v17, 7, v24
	v_ffbh_u32_e32 v26, v17
	v_min_u32_e32 v37, 32, v26
	v_subrev_u32_e32 v26, 28, v37
	v_lshlrev_b64 v[26:27], v26, v[24:25]
	v_lshrrev_b32_e32 v36, 3, v16
	v_sub_u32_e32 v27, 29, v37
	v_and_b32_e32 v26, 7, v26
	v_cmp_gt_u32_e32 vcc, 8, v16
	v_cndmask_b32_e32 v16, v36, v27, vcc
	v_cndmask_b32_e32 v17, v17, v26, vcc
	v_lshlrev_b32_e32 v24, 24, v24
	v_lshlrev_b32_e32 v17, 20, v17
	v_and_b32_e32 v24, 0x80000000, v24
	v_lshl_add_u32 v16, v16, 23, v46
	v_or3_b32 v17, v24, v16, v17
.LBB2_269:                              ;   in Loop: Header=BB2_114 Depth=3
	s_or_b64 exec, exec, s[52:53]
.LBB2_270:                              ;   in Loop: Header=BB2_114 Depth=3
	s_or_b64 exec, exec, s[50:51]
.LBB2_271:                              ;   in Loop: Header=BB2_114 Depth=3
	s_or_b64 exec, exec, s[48:49]
	v_cmp_lt_u32_e32 vcc, s66, v22
	s_and_saveexec_b64 s[48:49], vcc
	s_cbranch_execz .LBB2_277
; %bb.272:                              ;   in Loop: Header=BB2_114 Depth=3
	v_cmp_ne_u32_sdwa vcc, v22, s63 src0_sel:BYTE_3 src1_sel:DWORD
	v_bfrev_b32_e32 v25, 1
	s_and_saveexec_b64 s[50:51], vcc
	s_cbranch_execz .LBB2_276
; %bb.273:                              ;   in Loop: Header=BB2_114 Depth=3
	v_bfe_u32 v16, v22, 24, 7
	v_cmp_ne_u32_e32 vcc, s64, v16
	v_mov_b32_e32 v25, 0x7f800001
	s_and_saveexec_b64 s[52:53], vcc
	s_cbranch_execz .LBB2_275
; %bb.274:                              ;   in Loop: Header=BB2_114 Depth=3
	v_and_b32_e32 v26, 7, v2
	v_ffbh_u32_e32 v24, v26
	v_min_u32_e32 v36, 32, v24
	v_subrev_u32_e32 v24, 28, v36
	v_lshlrev_b64 v[24:25], v24, v[2:3]
	v_lshrrev_b32_e32 v27, 3, v16
	v_sub_u32_e32 v2, 29, v36
	v_and_b32_e32 v24, 7, v24
	v_cmp_gt_u32_e32 vcc, 8, v16
	v_cndmask_b32_e32 v2, v27, v2, vcc
	v_cndmask_b32_e32 v16, v26, v24, vcc
	v_lshlrev_b32_sdwa v22, v6, v22 dst_sel:DWORD dst_unused:UNUSED_PAD src0_sel:DWORD src1_sel:BYTE_3
	v_lshlrev_b32_e32 v16, 20, v16
	v_and_b32_e32 v22, 0x80000000, v22
	v_lshl_add_u32 v2, v2, 23, v46
	v_or3_b32 v25, v22, v2, v16
.LBB2_275:                              ;   in Loop: Header=BB2_114 Depth=3
	s_or_b64 exec, exec, s[52:53]
.LBB2_276:                              ;   in Loop: Header=BB2_114 Depth=3
	s_or_b64 exec, exec, s[50:51]
.LBB2_277:                              ;   in Loop: Header=BB2_114 Depth=3
	s_or_b64 exec, exec, s[48:49]
	v_max_f32_e32 v2, v25, v25
	v_max_f32_e32 v16, v17, v17
	v_min_f32_e32 v17, v16, v2
.LBB2_278:                              ;   in Loop: Header=BB2_114 Depth=3
	s_or_b64 exec, exec, s[20:21]
	v_and_b32_sdwa v2, v17, s63 dst_sel:DWORD dst_unused:UNUSED_PAD src0_sel:BYTE_3 src1_sel:DWORD
	v_and_b32_e32 v26, 0x7f800000, v17
	v_mov_b32_e32 v27, v23
	v_and_b32_e32 v22, 0x7fffff, v17
	v_or_b32_e32 v24, 0x7e, v2
	v_cmp_ne_u64_e32 vcc, s[38:39], v[26:27]
	s_and_saveexec_b64 s[20:21], vcc
	s_xor_b64 s[48:49], exec, s[20:21]
	s_cbranch_execz .LBB2_288
; %bb.279:                              ;   in Loop: Header=BB2_114 Depth=3
	v_and_b32_e32 v26, 0x7fffffff, v17
	v_mov_b32_e32 v27, v23
	v_cmp_gt_u64_e32 vcc, s[40:41], v[26:27]
	s_and_saveexec_b64 s[50:51], vcc
	s_cbranch_execz .LBB2_287
; %bb.280:                              ;   in Loop: Header=BB2_114 Depth=3
	v_cmp_ne_u32_e32 vcc, 0, v17
	v_mov_b32_e32 v24, 0
	s_and_saveexec_b64 s[52:53], vcc
	s_cbranch_execz .LBB2_286
; %bb.281:                              ;   in Loop: Header=BB2_114 Depth=3
	v_bfe_u32 v16, v17, 23, 8
	v_sub_u32_e32 v24, 0x79, v16
	v_cmp_gt_u32_e32 vcc, s65, v16
	v_cndmask_b32_e32 v24, 0, v24, vcc
	v_cmp_eq_u32_e32 vcc, 0, v16
	v_cndmask_b32_e32 v24, v24, v30, vcc
	v_add_u32_e32 v17, 0xffffff81, v16
	v_or_b32_e32 v25, 0x800000, v22
	v_add_u32_e32 v16, 20, v24
	v_cndmask_b32_e32 v40, v17, v47, vcc
	v_cndmask_b32_e32 v22, v25, v22, vcc
	v_lshlrev_b64 v[16:17], v16, -1
	v_not_b32_e32 v16, v16
	v_lshrrev_b64 v[36:37], v24, v[22:23]
	v_not_b32_e32 v17, v17
	v_and_b32_e32 v16, v22, v16
	v_add_u32_e32 v25, 19, v24
	v_lshrrev_b32_e32 v22, 23, v36
	v_and_b32_e32 v17, 0, v17
	v_lshlrev_b64 v[26:27], v25, 1
	v_add3_u32 v40, v24, v40, v22
	v_bfe_u32 v22, v36, 20, 1
	v_add_u32_e32 v22, -1, v22
	v_cmp_eq_u64_e32 vcc, v[16:17], v[26:27]
	v_cndmask_b32_e32 v16, 0, v22, vcc
	v_add_u32_e32 v16, v16, v36
	v_and_b32_e32 v16, 0xfffff, v16
	v_add_co_u32_e32 v16, vcc, v16, v36
	v_add_u32_e32 v25, 6, v40
	v_addc_co_u32_e32 v17, vcc, 0, v37, vcc
	v_cmp_ne_u32_e32 vcc, 0, v25
                                        ; implicit-def: $vgpr24
	s_and_saveexec_b64 s[20:21], vcc
	s_xor_b64 s[20:21], exec, s[20:21]
; %bb.282:                              ;   in Loop: Header=BB2_114 Depth=3
	v_add_u32_e32 v22, 7, v40
	v_cmp_lt_u64_e32 vcc, s[42:43], v[16:17]
	v_cndmask_b32_e32 v24, v25, v22, vcc
	v_cndmask_b32_e64 v22, 0, 1, vcc
	v_lshrrev_b64 v[16:17], v22, v[16:17]
; %bb.283:                              ;   in Loop: Header=BB2_114 Depth=3
	s_andn2_saveexec_b64 s[20:21], s[20:21]
; %bb.284:                              ;   in Loop: Header=BB2_114 Depth=3
	v_bfe_u32 v24, v16, 23, 1
; %bb.285:                              ;   in Loop: Header=BB2_114 Depth=3
	s_or_b64 exec, exec, s[20:21]
	v_lshrrev_b64 v[16:17], 20, v[16:17]
	v_cmp_gt_i32_e32 vcc, 16, v24
	v_cndmask_b32_e32 v17, 0, v17, vcc
	v_cndmask_b32_e32 v16, 7, v16, vcc
	v_cmp_eq_u64_e64 s[20:21], 0, v[16:17]
	v_min_i32_e32 v17, 15, v24
	v_cmp_eq_u32_e32 vcc, 0, v24
	v_lshlrev_b32_e32 v17, 3, v17
	v_and_or_b32 v16, v16, 7, v17
	s_and_b64 s[20:21], vcc, s[20:21]
	v_cndmask_b32_e64 v16, v16, 0, s[20:21]
	v_or_b32_e32 v24, v16, v2
.LBB2_286:                              ;   in Loop: Header=BB2_114 Depth=3
	s_or_b64 exec, exec, s[52:53]
.LBB2_287:                              ;   in Loop: Header=BB2_114 Depth=3
	s_or_b64 exec, exec, s[50:51]
                                        ; implicit-def: $vgpr17
.LBB2_288:                              ;   in Loop: Header=BB2_114 Depth=3
	s_andn2_saveexec_b64 s[20:21], s[48:49]
; %bb.289:                              ;   in Loop: Header=BB2_114 Depth=3
	v_or_b32_sdwa v2, v17, s64 dst_sel:DWORD dst_unused:UNUSED_PAD src0_sel:BYTE_3 src1_sel:DWORD
	v_cmp_eq_u64_e32 vcc, 0, v[22:23]
	v_cndmask_b32_e32 v24, v2, v24, vcc
; %bb.290:                              ;   in Loop: Header=BB2_114 Depth=3
	s_or_b64 exec, exec, s[20:21]
	v_alignbit_b32 v22, v60, v61, v19
	v_mov_b32_e32 v19, v23
	v_cmp_ne_u16_sdwa s[20:21], v18, v23 src0_sel:BYTE_0 src1_sel:DWORD
                                        ; implicit-def: $vgpr60
	s_and_saveexec_b64 vcc, s[14:15]
	s_xor_b64 s[48:49], exec, vcc
	s_cbranch_execz .LBB2_304
; %bb.291:                              ;   in Loop: Header=BB2_114 Depth=3
	v_mov_b32_e32 v16, 0
	v_mov_b32_e32 v2, 0
	s_and_saveexec_b64 s[50:51], s[20:21]
	s_cbranch_execz .LBB2_297
; %bb.292:                              ;   in Loop: Header=BB2_114 Depth=3
	v_cmp_ne_u16_sdwa vcc, v18, s63 src0_sel:BYTE_0 src1_sel:DWORD
	v_bfrev_b32_e32 v2, 1
	s_and_saveexec_b64 s[52:53], vcc
	s_cbranch_execz .LBB2_296
; %bb.293:                              ;   in Loop: Header=BB2_114 Depth=3
	v_and_b32_e32 v17, 0x7f, v18
	v_cmp_ne_u32_e32 vcc, s64, v17
	v_mov_b32_e32 v2, 0x7f800001
	s_and_saveexec_b64 s[54:55], vcc
	s_cbranch_execz .LBB2_295
; %bb.294:                              ;   in Loop: Header=BB2_114 Depth=3
	v_and_b32_e32 v2, 7, v18
	v_ffbh_u32_e32 v2, v2
	v_min_u32_e32 v2, 32, v2
	v_subrev_u32_e32 v26, 28, v2
	v_cmp_gt_u32_e32 vcc, 8, v17
	v_lshrrev_b32_e32 v25, 3, v17
	v_cndmask_b32_e32 v17, 0, v26, vcc
	v_sub_u32_e32 v2, 29, v2
	v_lshlrev_b64 v[26:27], v17, v[18:19]
	v_cndmask_b32_e32 v2, v25, v2, vcc
	v_lshlrev_b32_e32 v17, 20, v26
	v_lshlrev_b32_e32 v19, 24, v18
	v_and_b32_e32 v17, 0x700000, v17
	v_and_b32_e32 v19, 0x80000000, v19
	v_lshl_add_u32 v2, v2, 23, v46
	v_or3_b32 v2, v19, v2, v17
.LBB2_295:                              ;   in Loop: Header=BB2_114 Depth=3
	s_or_b64 exec, exec, s[54:55]
.LBB2_296:                              ;   in Loop: Header=BB2_114 Depth=3
	s_or_b64 exec, exec, s[52:53]
.LBB2_297:                              ;   in Loop: Header=BB2_114 Depth=3
	s_or_b64 exec, exec, s[50:51]
	v_cmp_ne_u16_sdwa vcc, v22, v23 src0_sel:BYTE_0 src1_sel:DWORD
	s_and_saveexec_b64 s[50:51], vcc
	s_cbranch_execz .LBB2_303
; %bb.298:                              ;   in Loop: Header=BB2_114 Depth=3
	v_cmp_ne_u16_sdwa vcc, v22, s63 src0_sel:BYTE_0 src1_sel:DWORD
	v_bfrev_b32_e32 v16, 1
	s_and_saveexec_b64 s[52:53], vcc
	s_cbranch_execz .LBB2_302
; %bb.299:                              ;   in Loop: Header=BB2_114 Depth=3
	v_and_b32_e32 v17, 0x7f, v22
	v_cmp_ne_u32_e32 vcc, s64, v17
	v_mov_b32_e32 v16, 0x7f800001
	s_and_saveexec_b64 s[54:55], vcc
	s_cbranch_execz .LBB2_301
; %bb.300:                              ;   in Loop: Header=BB2_114 Depth=3
	v_and_b32_e32 v16, 7, v22
	v_ffbh_u32_e32 v16, v16
	v_min_u32_e32 v16, 32, v16
	v_lshrrev_b32_e32 v19, 3, v17
	v_subrev_u32_e32 v25, 28, v16
	v_sub_u32_e32 v16, 29, v16
	v_cmp_gt_u32_e32 vcc, 8, v17
	v_cndmask_b32_e32 v19, v19, v16, vcc
	v_cndmask_b32_e32 v16, 0, v25, vcc
	v_lshlrev_b64 v[16:17], v16, v[22:23]
	v_lshlrev_b32_e32 v16, 20, v16
	v_lshlrev_b32_e32 v17, 24, v22
	v_and_b32_e32 v16, 0x700000, v16
	v_and_b32_e32 v17, 0x80000000, v17
	v_lshl_add_u32 v19, v19, 23, v46
	v_or3_b32 v16, v17, v19, v16
.LBB2_301:                              ;   in Loop: Header=BB2_114 Depth=3
	s_or_b64 exec, exec, s[54:55]
.LBB2_302:                              ;   in Loop: Header=BB2_114 Depth=3
	s_or_b64 exec, exec, s[52:53]
.LBB2_303:                              ;   in Loop: Header=BB2_114 Depth=3
	s_or_b64 exec, exec, s[50:51]
	v_max_f32_e32 v16, v16, v16
	v_max_f32_e32 v2, v2, v2
	v_max_f32_e32 v60, v2, v16
.LBB2_304:                              ;   in Loop: Header=BB2_114 Depth=3
	s_andn2_saveexec_b64 s[48:49], s[48:49]
	s_cbranch_execz .LBB2_318
; %bb.305:                              ;   in Loop: Header=BB2_114 Depth=3
	v_mov_b32_e32 v16, 0
	v_mov_b32_e32 v2, 0
	s_and_saveexec_b64 s[50:51], s[20:21]
	s_cbranch_execz .LBB2_311
; %bb.306:                              ;   in Loop: Header=BB2_114 Depth=3
	v_cmp_ne_u16_sdwa vcc, v18, s63 src0_sel:BYTE_0 src1_sel:DWORD
	v_bfrev_b32_e32 v2, 1
	s_and_saveexec_b64 s[20:21], vcc
	s_cbranch_execz .LBB2_310
; %bb.307:                              ;   in Loop: Header=BB2_114 Depth=3
	v_and_b32_e32 v17, 0x7f, v18
	v_cmp_ne_u32_e32 vcc, s64, v17
	v_mov_b32_e32 v2, 0x7f800001
	s_and_saveexec_b64 s[52:53], vcc
	s_cbranch_execz .LBB2_309
; %bb.308:                              ;   in Loop: Header=BB2_114 Depth=3
	v_and_b32_e32 v2, 7, v18
	v_ffbh_u32_e32 v2, v2
	v_min_u32_e32 v2, 32, v2
	v_subrev_u32_e32 v26, 28, v2
	v_cmp_gt_u32_e32 vcc, 8, v17
	v_lshrrev_b32_e32 v25, 3, v17
	v_cndmask_b32_e32 v17, 0, v26, vcc
	v_sub_u32_e32 v2, 29, v2
	v_lshlrev_b64 v[26:27], v17, v[18:19]
	v_cndmask_b32_e32 v2, v25, v2, vcc
	v_lshlrev_b32_e32 v17, 20, v26
	v_lshlrev_b32_e32 v19, 24, v18
	v_and_b32_e32 v17, 0x700000, v17
	v_and_b32_e32 v19, 0x80000000, v19
	v_lshl_add_u32 v2, v2, 23, v46
	v_or3_b32 v2, v19, v2, v17
.LBB2_309:                              ;   in Loop: Header=BB2_114 Depth=3
	s_or_b64 exec, exec, s[52:53]
.LBB2_310:                              ;   in Loop: Header=BB2_114 Depth=3
	s_or_b64 exec, exec, s[20:21]
.LBB2_311:                              ;   in Loop: Header=BB2_114 Depth=3
	s_or_b64 exec, exec, s[50:51]
	v_cmp_ne_u16_sdwa vcc, v22, v23 src0_sel:BYTE_0 src1_sel:DWORD
	s_and_saveexec_b64 s[20:21], vcc
	s_cbranch_execz .LBB2_317
; %bb.312:                              ;   in Loop: Header=BB2_114 Depth=3
	v_cmp_ne_u16_sdwa vcc, v22, s63 src0_sel:BYTE_0 src1_sel:DWORD
	v_bfrev_b32_e32 v16, 1
	s_and_saveexec_b64 s[50:51], vcc
	s_cbranch_execz .LBB2_316
; %bb.313:                              ;   in Loop: Header=BB2_114 Depth=3
	v_and_b32_e32 v17, 0x7f, v22
	v_cmp_ne_u32_e32 vcc, s64, v17
	v_mov_b32_e32 v16, 0x7f800001
	s_and_saveexec_b64 s[52:53], vcc
	s_cbranch_execz .LBB2_315
; %bb.314:                              ;   in Loop: Header=BB2_114 Depth=3
	v_and_b32_e32 v16, 7, v22
	v_ffbh_u32_e32 v16, v16
	v_min_u32_e32 v16, 32, v16
	v_lshrrev_b32_e32 v19, 3, v17
	v_subrev_u32_e32 v25, 28, v16
	v_sub_u32_e32 v16, 29, v16
	v_cmp_gt_u32_e32 vcc, 8, v17
	v_cndmask_b32_e32 v19, v19, v16, vcc
	v_cndmask_b32_e32 v16, 0, v25, vcc
	v_lshlrev_b64 v[16:17], v16, v[22:23]
	v_lshlrev_b32_e32 v16, 20, v16
	v_lshlrev_b32_e32 v17, 24, v22
	v_and_b32_e32 v16, 0x700000, v16
	v_and_b32_e32 v17, 0x80000000, v17
	v_lshl_add_u32 v19, v19, 23, v46
	v_or3_b32 v16, v17, v19, v16
.LBB2_315:                              ;   in Loop: Header=BB2_114 Depth=3
	s_or_b64 exec, exec, s[52:53]
.LBB2_316:                              ;   in Loop: Header=BB2_114 Depth=3
	s_or_b64 exec, exec, s[50:51]
.LBB2_317:                              ;   in Loop: Header=BB2_114 Depth=3
	s_or_b64 exec, exec, s[20:21]
	v_max_f32_e32 v16, v16, v16
	v_max_f32_e32 v2, v2, v2
	v_min_f32_e32 v60, v2, v16
.LBB2_318:                              ;   in Loop: Header=BB2_114 Depth=3
	s_or_b64 exec, exec, s[48:49]
	v_and_b32_sdwa v2, v60, s63 dst_sel:DWORD dst_unused:UNUSED_PAD src0_sel:BYTE_3 src1_sel:DWORD
	v_and_b32_e32 v26, 0x7f800000, v60
	v_mov_b32_e32 v27, v23
	v_and_b32_e32 v16, 0x7fffff, v60
	v_mov_b32_e32 v17, v23
	v_or_b32_e32 v25, 0x7e, v2
	v_cmp_ne_u64_e32 vcc, s[38:39], v[26:27]
	s_and_saveexec_b64 s[20:21], vcc
	s_xor_b64 s[48:49], exec, s[20:21]
	s_cbranch_execz .LBB2_328
; %bb.319:                              ;   in Loop: Header=BB2_114 Depth=3
	v_and_b32_e32 v26, 0x7fffffff, v60
	v_mov_b32_e32 v27, v23
	v_cmp_gt_u64_e32 vcc, s[40:41], v[26:27]
	s_and_saveexec_b64 s[50:51], vcc
	s_cbranch_execz .LBB2_327
; %bb.320:                              ;   in Loop: Header=BB2_114 Depth=3
	v_cmp_ne_u32_e32 vcc, 0, v60
	v_mov_b32_e32 v25, 0
	s_and_saveexec_b64 s[52:53], vcc
	s_cbranch_execz .LBB2_326
; %bb.321:                              ;   in Loop: Header=BB2_114 Depth=3
	v_bfe_u32 v19, v60, 23, 8
	v_sub_u32_e32 v26, 0x79, v19
	v_cmp_gt_u32_e32 vcc, s65, v19
	v_add_u32_e32 v25, 0xffffff81, v19
	v_cndmask_b32_e32 v26, 0, v26, vcc
	v_cmp_eq_u32_e32 vcc, 0, v19
	v_cndmask_b32_e32 v19, v25, v47, vcc
	v_cndmask_b32_e32 v25, v26, v30, vcc
	v_or_b32_e32 v27, 0x800000, v16
	v_add_u32_e32 v26, 20, v25
	v_cndmask_b32_e32 v16, v27, v16, vcc
	v_lshlrev_b64 v[26:27], v26, -1
	v_not_b32_e32 v26, v26
	v_and_b32_e32 v26, v16, v26
	v_lshrrev_b64 v[16:17], v25, v[16:17]
	v_not_b32_e32 v27, v27
	v_add_u32_e32 v36, 19, v25
	v_lshrrev_b32_e32 v40, 23, v16
	v_and_b32_e32 v27, 0, v27
	v_lshlrev_b64 v[36:37], v36, 1
	v_add3_u32 v60, v25, v19, v40
	v_bfe_u32 v19, v16, 20, 1
	v_add_u32_e32 v19, -1, v19
	v_cmp_eq_u64_e32 vcc, v[26:27], v[36:37]
	v_cndmask_b32_e32 v19, 0, v19, vcc
	v_add_u32_e32 v19, v19, v16
	v_and_b32_e32 v19, 0xfffff, v19
	v_add_co_u32_e32 v16, vcc, v19, v16
	v_add_u32_e32 v25, 6, v60
	v_addc_co_u32_e32 v17, vcc, 0, v17, vcc
	v_cmp_ne_u32_e32 vcc, 0, v25
                                        ; implicit-def: $vgpr19
	s_and_saveexec_b64 s[20:21], vcc
	s_xor_b64 s[20:21], exec, s[20:21]
; %bb.322:                              ;   in Loop: Header=BB2_114 Depth=3
	v_add_u32_e32 v19, 7, v60
	v_cmp_lt_u64_e32 vcc, s[42:43], v[16:17]
	v_cndmask_b32_e32 v19, v25, v19, vcc
	v_cndmask_b32_e64 v25, 0, 1, vcc
	v_lshrrev_b64 v[16:17], v25, v[16:17]
; %bb.323:                              ;   in Loop: Header=BB2_114 Depth=3
	s_andn2_saveexec_b64 s[20:21], s[20:21]
; %bb.324:                              ;   in Loop: Header=BB2_114 Depth=3
	v_bfe_u32 v19, v16, 23, 1
; %bb.325:                              ;   in Loop: Header=BB2_114 Depth=3
	s_or_b64 exec, exec, s[20:21]
	v_lshrrev_b64 v[16:17], 20, v[16:17]
	v_cmp_gt_i32_e32 vcc, 16, v19
	v_cndmask_b32_e32 v17, 0, v17, vcc
	v_cndmask_b32_e32 v16, 7, v16, vcc
	v_cmp_eq_u64_e64 s[20:21], 0, v[16:17]
	v_min_i32_e32 v17, 15, v19
	v_cmp_eq_u32_e32 vcc, 0, v19
	v_lshlrev_b32_e32 v17, 3, v17
	v_and_or_b32 v16, v16, 7, v17
	s_and_b64 s[20:21], vcc, s[20:21]
	v_cndmask_b32_e64 v16, v16, 0, s[20:21]
	v_or_b32_e32 v25, v16, v2
.LBB2_326:                              ;   in Loop: Header=BB2_114 Depth=3
	s_or_b64 exec, exec, s[52:53]
.LBB2_327:                              ;   in Loop: Header=BB2_114 Depth=3
	s_or_b64 exec, exec, s[50:51]
                                        ; implicit-def: $vgpr60
                                        ; implicit-def: $vgpr16_vgpr17
.LBB2_328:                              ;   in Loop: Header=BB2_114 Depth=3
	s_andn2_saveexec_b64 s[20:21], s[48:49]
; %bb.329:                              ;   in Loop: Header=BB2_114 Depth=3
	v_or_b32_sdwa v2, v60, s64 dst_sel:DWORD dst_unused:UNUSED_PAD src0_sel:BYTE_3 src1_sel:DWORD
	v_cmp_eq_u64_e32 vcc, 0, v[16:17]
	v_cndmask_b32_e32 v25, v2, v25, vcc
; %bb.330:                              ;   in Loop: Header=BB2_114 Depth=3
	s_or_b64 exec, exec, s[20:21]
	v_lshrrev_b16_e32 v16, 8, v18
	v_lshrrev_b16_e32 v2, 8, v22
	v_cmp_ne_u16_e32 vcc, 0, v16
                                        ; implicit-def: $vgpr19
	s_and_saveexec_b64 s[20:21], s[14:15]
	s_xor_b64 s[48:49], exec, s[20:21]
	s_cbranch_execz .LBB2_344
; %bb.331:                              ;   in Loop: Header=BB2_114 Depth=3
	v_mov_b32_e32 v19, 0
	v_mov_b32_e32 v17, 0
	s_and_saveexec_b64 s[50:51], vcc
	s_cbranch_execz .LBB2_337
; %bb.332:                              ;   in Loop: Header=BB2_114 Depth=3
	v_cmp_ne_u16_e64 s[20:21], s63, v16
	v_bfrev_b32_e32 v17, 1
	s_and_saveexec_b64 s[52:53], s[20:21]
	s_cbranch_execz .LBB2_336
; %bb.333:                              ;   in Loop: Header=BB2_114 Depth=3
	v_and_b32_e32 v60, 0x7f, v16
	v_cmp_ne_u32_e64 s[20:21], s64, v60
	v_mov_b32_e32 v17, 0x7f800001
	s_and_saveexec_b64 s[54:55], s[20:21]
	s_cbranch_execz .LBB2_335
; %bb.334:                              ;   in Loop: Header=BB2_114 Depth=3
	v_and_b32_e32 v26, 7, v16
	v_ffbh_u32_e32 v17, v26
	v_min_u32_e32 v36, 32, v17
	v_subrev_u32_e32 v17, 28, v36
	v_lshlrev_b64 v[16:17], v17, v[16:17]
	v_lshrrev_b32_e32 v27, 3, v60
	v_sub_u32_e32 v17, 29, v36
	v_and_b32_e32 v16, 7, v16
	v_cmp_gt_u32_e64 s[20:21], 8, v60
	v_cndmask_b32_e64 v17, v27, v17, s[20:21]
	v_cndmask_b32_e64 v16, v26, v16, s[20:21]
	v_lshlrev_b32_e32 v26, 16, v18
	v_lshlrev_b32_e32 v16, 20, v16
	v_and_b32_e32 v26, 0x80000000, v26
	v_lshl_add_u32 v17, v17, 23, v46
	v_or3_b32 v17, v26, v17, v16
.LBB2_335:                              ;   in Loop: Header=BB2_114 Depth=3
	s_or_b64 exec, exec, s[54:55]
.LBB2_336:                              ;   in Loop: Header=BB2_114 Depth=3
	s_or_b64 exec, exec, s[52:53]
.LBB2_337:                              ;   in Loop: Header=BB2_114 Depth=3
	s_or_b64 exec, exec, s[50:51]
	v_cmp_ne_u16_e64 s[20:21], 0, v2
	s_and_saveexec_b64 s[50:51], s[20:21]
	s_cbranch_execz .LBB2_343
; %bb.338:                              ;   in Loop: Header=BB2_114 Depth=3
	v_cmp_ne_u16_e64 s[20:21], s63, v2
	v_bfrev_b32_e32 v19, 1
	s_and_saveexec_b64 s[52:53], s[20:21]
	s_cbranch_execz .LBB2_342
; %bb.339:                              ;   in Loop: Header=BB2_114 Depth=3
	v_and_b32_e32 v16, 0x7f, v2
	v_cmp_ne_u32_e64 s[20:21], s64, v16
	v_mov_b32_e32 v19, 0x7f800001
	s_and_saveexec_b64 s[54:55], s[20:21]
	s_cbranch_execz .LBB2_341
; %bb.340:                              ;   in Loop: Header=BB2_114 Depth=3
	v_and_b32_e32 v19, 7, v2
	v_ffbh_u32_e32 v26, v19
	v_min_u32_e32 v37, 32, v26
	v_subrev_u32_e32 v26, 28, v37
	v_lshlrev_b64 v[26:27], v26, v[2:3]
	v_lshrrev_b32_e32 v36, 3, v16
	v_sub_u32_e32 v2, 29, v37
	v_and_b32_e32 v26, 7, v26
	v_cmp_gt_u32_e64 s[20:21], 8, v16
	v_cndmask_b32_e64 v2, v36, v2, s[20:21]
	v_cndmask_b32_e64 v16, v19, v26, s[20:21]
	v_lshlrev_b32_e32 v19, 16, v22
	v_lshlrev_b32_e32 v16, 20, v16
	v_and_b32_e32 v19, 0x80000000, v19
	v_lshl_add_u32 v2, v2, 23, v46
	v_or3_b32 v19, v19, v2, v16
.LBB2_341:                              ;   in Loop: Header=BB2_114 Depth=3
	s_or_b64 exec, exec, s[54:55]
.LBB2_342:                              ;   in Loop: Header=BB2_114 Depth=3
	s_or_b64 exec, exec, s[52:53]
.LBB2_343:                              ;   in Loop: Header=BB2_114 Depth=3
	s_or_b64 exec, exec, s[50:51]
	v_max_f32_e32 v2, v19, v19
	v_max_f32_e32 v16, v17, v17
	;; [unrolled: 1-line block ×3, first 2 shown]
                                        ; implicit-def: $vgpr2
                                        ; implicit-def: $vgpr16
.LBB2_344:                              ;   in Loop: Header=BB2_114 Depth=3
	s_andn2_saveexec_b64 s[20:21], s[48:49]
	s_cbranch_execz .LBB2_358
; %bb.345:                              ;   in Loop: Header=BB2_114 Depth=3
	v_mov_b32_e32 v19, 0
	v_mov_b32_e32 v17, 0
	s_and_saveexec_b64 s[48:49], vcc
	s_cbranch_execz .LBB2_351
; %bb.346:                              ;   in Loop: Header=BB2_114 Depth=3
	v_cmp_ne_u16_e32 vcc, s63, v16
	v_bfrev_b32_e32 v17, 1
	s_and_saveexec_b64 s[50:51], vcc
	s_cbranch_execz .LBB2_350
; %bb.347:                              ;   in Loop: Header=BB2_114 Depth=3
	v_and_b32_e32 v60, 0x7f, v16
	v_cmp_ne_u32_e32 vcc, s64, v60
	v_mov_b32_e32 v17, 0x7f800001
	s_and_saveexec_b64 s[52:53], vcc
	s_cbranch_execz .LBB2_349
; %bb.348:                              ;   in Loop: Header=BB2_114 Depth=3
	v_and_b32_e32 v26, 7, v16
	v_ffbh_u32_e32 v17, v26
	v_min_u32_e32 v36, 32, v17
	v_subrev_u32_e32 v17, 28, v36
	v_lshlrev_b64 v[16:17], v17, v[16:17]
	v_lshrrev_b32_e32 v27, 3, v60
	v_sub_u32_e32 v17, 29, v36
	v_and_b32_e32 v16, 7, v16
	v_cmp_gt_u32_e32 vcc, 8, v60
	v_cndmask_b32_e32 v17, v27, v17, vcc
	v_cndmask_b32_e32 v16, v26, v16, vcc
	v_lshlrev_b32_e32 v26, 16, v18
	v_lshlrev_b32_e32 v16, 20, v16
	v_and_b32_e32 v26, 0x80000000, v26
	v_lshl_add_u32 v17, v17, 23, v46
	v_or3_b32 v17, v26, v17, v16
.LBB2_349:                              ;   in Loop: Header=BB2_114 Depth=3
	s_or_b64 exec, exec, s[52:53]
.LBB2_350:                              ;   in Loop: Header=BB2_114 Depth=3
	s_or_b64 exec, exec, s[50:51]
.LBB2_351:                              ;   in Loop: Header=BB2_114 Depth=3
	s_or_b64 exec, exec, s[48:49]
	v_cmp_ne_u16_e32 vcc, 0, v2
	s_and_saveexec_b64 s[48:49], vcc
	s_cbranch_execz .LBB2_357
; %bb.352:                              ;   in Loop: Header=BB2_114 Depth=3
	v_cmp_ne_u16_e32 vcc, s63, v2
	v_bfrev_b32_e32 v19, 1
	s_and_saveexec_b64 s[50:51], vcc
	s_cbranch_execz .LBB2_356
; %bb.353:                              ;   in Loop: Header=BB2_114 Depth=3
	v_and_b32_e32 v16, 0x7f, v2
	v_cmp_ne_u32_e32 vcc, s64, v16
	v_mov_b32_e32 v19, 0x7f800001
	s_and_saveexec_b64 s[52:53], vcc
	s_cbranch_execz .LBB2_355
; %bb.354:                              ;   in Loop: Header=BB2_114 Depth=3
	v_and_b32_e32 v19, 7, v2
	v_ffbh_u32_e32 v26, v19
	v_min_u32_e32 v37, 32, v26
	v_subrev_u32_e32 v26, 28, v37
	v_lshlrev_b64 v[26:27], v26, v[2:3]
	v_lshrrev_b32_e32 v36, 3, v16
	v_sub_u32_e32 v2, 29, v37
	v_and_b32_e32 v26, 7, v26
	v_cmp_gt_u32_e32 vcc, 8, v16
	v_cndmask_b32_e32 v2, v36, v2, vcc
	v_cndmask_b32_e32 v16, v19, v26, vcc
	v_lshlrev_b32_e32 v19, 16, v22
	v_lshlrev_b32_e32 v16, 20, v16
	v_and_b32_e32 v19, 0x80000000, v19
	v_lshl_add_u32 v2, v2, 23, v46
	v_or3_b32 v19, v19, v2, v16
.LBB2_355:                              ;   in Loop: Header=BB2_114 Depth=3
	s_or_b64 exec, exec, s[52:53]
.LBB2_356:                              ;   in Loop: Header=BB2_114 Depth=3
	s_or_b64 exec, exec, s[50:51]
.LBB2_357:                              ;   in Loop: Header=BB2_114 Depth=3
	s_or_b64 exec, exec, s[48:49]
	v_max_f32_e32 v2, v19, v19
	v_max_f32_e32 v16, v17, v17
	v_min_f32_e32 v19, v16, v2
.LBB2_358:                              ;   in Loop: Header=BB2_114 Depth=3
	s_or_b64 exec, exec, s[20:21]
	v_and_b32_sdwa v2, v19, s63 dst_sel:DWORD dst_unused:UNUSED_PAD src0_sel:BYTE_3 src1_sel:DWORD
	v_and_b32_e32 v26, 0x7f800000, v19
	v_mov_b32_e32 v27, v23
	v_and_b32_e32 v16, 0x7fffff, v19
	v_mov_b32_e32 v17, v23
	v_or_b32_e32 v60, 0x7e, v2
	v_cmp_ne_u64_e32 vcc, s[38:39], v[26:27]
	s_and_saveexec_b64 s[20:21], vcc
	s_xor_b64 s[48:49], exec, s[20:21]
	s_cbranch_execz .LBB2_368
; %bb.359:                              ;   in Loop: Header=BB2_114 Depth=3
	v_and_b32_e32 v26, 0x7fffffff, v19
	v_mov_b32_e32 v27, v23
	v_cmp_gt_u64_e32 vcc, s[40:41], v[26:27]
	s_and_saveexec_b64 s[50:51], vcc
	s_cbranch_execz .LBB2_367
; %bb.360:                              ;   in Loop: Header=BB2_114 Depth=3
	v_cmp_ne_u32_e32 vcc, 0, v19
	v_mov_b32_e32 v60, 0
	s_and_saveexec_b64 s[52:53], vcc
	s_cbranch_execz .LBB2_366
; %bb.361:                              ;   in Loop: Header=BB2_114 Depth=3
	v_bfe_u32 v19, v19, 23, 8
	v_sub_u32_e32 v27, 0x79, v19
	v_cmp_gt_u32_e32 vcc, s65, v19
	v_cndmask_b32_e32 v27, 0, v27, vcc
	v_cmp_eq_u32_e32 vcc, 0, v19
	v_add_u32_e32 v26, 0xffffff81, v19
	v_cndmask_b32_e32 v40, v27, v30, vcc
	v_cndmask_b32_e32 v19, v26, v47, vcc
	v_add_u32_e32 v26, 20, v40
	v_or_b32_e32 v36, 0x800000, v16
	v_lshlrev_b64 v[26:27], v26, -1
	v_cndmask_b32_e32 v16, v36, v16, vcc
	v_not_b32_e32 v26, v26
	v_and_b32_e32 v26, v16, v26
	v_lshrrev_b64 v[16:17], v40, v[16:17]
	v_not_b32_e32 v27, v27
	v_add_u32_e32 v36, 19, v40
	v_lshrrev_b32_e32 v41, 23, v16
	v_and_b32_e32 v27, 0, v27
	v_lshlrev_b64 v[36:37], v36, 1
	v_add3_u32 v61, v40, v19, v41
	v_bfe_u32 v19, v16, 20, 1
	v_add_u32_e32 v19, -1, v19
	v_cmp_eq_u64_e32 vcc, v[26:27], v[36:37]
	v_cndmask_b32_e32 v19, 0, v19, vcc
	v_add_u32_e32 v19, v19, v16
	v_and_b32_e32 v19, 0xfffff, v19
	v_add_co_u32_e32 v16, vcc, v19, v16
	v_add_u32_e32 v60, 6, v61
	v_addc_co_u32_e32 v17, vcc, 0, v17, vcc
	v_cmp_ne_u32_e32 vcc, 0, v60
                                        ; implicit-def: $vgpr19
	s_and_saveexec_b64 s[20:21], vcc
	s_xor_b64 s[20:21], exec, s[20:21]
; %bb.362:                              ;   in Loop: Header=BB2_114 Depth=3
	v_cmp_lt_u64_e32 vcc, s[42:43], v[16:17]
	v_add_u32_e32 v19, 7, v61
	v_cndmask_b32_e64 v26, 0, 1, vcc
	v_cndmask_b32_e32 v19, v60, v19, vcc
	v_lshrrev_b64 v[16:17], v26, v[16:17]
; %bb.363:                              ;   in Loop: Header=BB2_114 Depth=3
	s_andn2_saveexec_b64 s[20:21], s[20:21]
; %bb.364:                              ;   in Loop: Header=BB2_114 Depth=3
	v_bfe_u32 v19, v16, 23, 1
; %bb.365:                              ;   in Loop: Header=BB2_114 Depth=3
	s_or_b64 exec, exec, s[20:21]
	v_lshrrev_b64 v[16:17], 20, v[16:17]
	v_cmp_gt_i32_e32 vcc, 16, v19
	v_cndmask_b32_e32 v17, 0, v17, vcc
	v_cndmask_b32_e32 v16, 7, v16, vcc
	v_cmp_eq_u64_e64 s[20:21], 0, v[16:17]
	v_min_i32_e32 v17, 15, v19
	v_cmp_eq_u32_e32 vcc, 0, v19
	v_lshlrev_b32_e32 v17, 3, v17
	v_and_or_b32 v16, v16, 7, v17
	s_and_b64 s[20:21], vcc, s[20:21]
	v_cndmask_b32_e64 v16, v16, 0, s[20:21]
	v_or_b32_e32 v60, v16, v2
.LBB2_366:                              ;   in Loop: Header=BB2_114 Depth=3
	s_or_b64 exec, exec, s[52:53]
.LBB2_367:                              ;   in Loop: Header=BB2_114 Depth=3
	s_or_b64 exec, exec, s[50:51]
                                        ; implicit-def: $vgpr19
                                        ; implicit-def: $vgpr16_vgpr17
.LBB2_368:                              ;   in Loop: Header=BB2_114 Depth=3
	s_andn2_saveexec_b64 s[20:21], s[48:49]
; %bb.369:                              ;   in Loop: Header=BB2_114 Depth=3
	v_or_b32_sdwa v2, v19, s64 dst_sel:DWORD dst_unused:UNUSED_PAD src0_sel:BYTE_3 src1_sel:DWORD
	v_cmp_eq_u64_e32 vcc, 0, v[16:17]
	v_cndmask_b32_e32 v60, v2, v60, vcc
; %bb.370:                              ;   in Loop: Header=BB2_114 Depth=3
	s_or_b64 exec, exec, s[20:21]
	v_lshrrev_b32_e32 v16, 16, v18
	v_lshrrev_b32_e32 v2, 16, v22
	v_cmp_ne_u16_sdwa s[20:21], v16, v23 src0_sel:BYTE_0 src1_sel:DWORD
                                        ; implicit-def: $vgpr19
	s_and_saveexec_b64 vcc, s[14:15]
	s_xor_b64 s[48:49], exec, vcc
	s_cbranch_execz .LBB2_384
; %bb.371:                              ;   in Loop: Header=BB2_114 Depth=3
	v_mov_b32_e32 v19, 0
	v_mov_b32_e32 v17, 0
	s_and_saveexec_b64 s[50:51], s[20:21]
	s_cbranch_execz .LBB2_377
; %bb.372:                              ;   in Loop: Header=BB2_114 Depth=3
	v_cmp_ne_u16_sdwa vcc, v16, s63 src0_sel:BYTE_0 src1_sel:DWORD
	v_bfrev_b32_e32 v17, 1
	s_and_saveexec_b64 s[52:53], vcc
	s_cbranch_execz .LBB2_376
; %bb.373:                              ;   in Loop: Header=BB2_114 Depth=3
	v_bfe_u32 v61, v18, 16, 7
	v_cmp_ne_u32_e32 vcc, s64, v61
	v_mov_b32_e32 v17, 0x7f800001
	s_and_saveexec_b64 s[54:55], vcc
	s_cbranch_execz .LBB2_375
; %bb.374:                              ;   in Loop: Header=BB2_114 Depth=3
	v_and_b32_e32 v17, 7, v16
	v_ffbh_u32_e32 v26, v17
	v_min_u32_e32 v37, 32, v26
	v_subrev_u32_e32 v26, 28, v37
	v_lshlrev_b64 v[26:27], v26, v[16:17]
	v_lshrrev_b32_e32 v36, 3, v61
	v_sub_u32_e32 v27, 29, v37
	v_and_b32_e32 v26, 7, v26
	v_cmp_gt_u32_e32 vcc, 8, v61
	v_cndmask_b32_e32 v27, v36, v27, vcc
	v_cndmask_b32_e32 v17, v17, v26, vcc
	v_lshlrev_b32_e32 v16, 24, v16
	v_lshlrev_b32_e32 v17, 20, v17
	v_and_b32_e32 v16, 0x80000000, v16
	v_lshl_add_u32 v26, v27, 23, v46
	v_or3_b32 v17, v16, v26, v17
.LBB2_375:                              ;   in Loop: Header=BB2_114 Depth=3
	s_or_b64 exec, exec, s[54:55]
.LBB2_376:                              ;   in Loop: Header=BB2_114 Depth=3
	s_or_b64 exec, exec, s[52:53]
.LBB2_377:                              ;   in Loop: Header=BB2_114 Depth=3
	s_or_b64 exec, exec, s[50:51]
	v_and_b32_sdwa v16, v22, s62 dst_sel:DWORD dst_unused:UNUSED_PAD src0_sel:WORD_1 src1_sel:DWORD
	v_cmp_ne_u16_e32 vcc, 0, v16
	s_and_saveexec_b64 s[50:51], vcc
	s_cbranch_execz .LBB2_383
; %bb.378:                              ;   in Loop: Header=BB2_114 Depth=3
	v_cmp_ne_u16_e32 vcc, s63, v16
	v_bfrev_b32_e32 v19, 1
	s_and_saveexec_b64 s[52:53], vcc
	s_cbranch_execz .LBB2_382
; %bb.379:                              ;   in Loop: Header=BB2_114 Depth=3
	v_bfe_u32 v16, v22, 16, 7
	v_cmp_ne_u32_e32 vcc, s64, v16
	v_mov_b32_e32 v19, 0x7f800001
	s_and_saveexec_b64 s[54:55], vcc
	s_cbranch_execz .LBB2_381
; %bb.380:                              ;   in Loop: Header=BB2_114 Depth=3
	v_and_b32_e32 v19, 7, v2
	v_ffbh_u32_e32 v26, v19
	v_min_u32_e32 v37, 32, v26
	v_subrev_u32_e32 v26, 28, v37
	v_lshlrev_b64 v[26:27], v26, v[2:3]
	v_lshrrev_b32_e32 v36, 3, v16
	v_sub_u32_e32 v2, 29, v37
	v_and_b32_e32 v26, 7, v26
	v_cmp_gt_u32_e32 vcc, 8, v16
	v_cndmask_b32_e32 v2, v36, v2, vcc
	v_cndmask_b32_e32 v16, v19, v26, vcc
	v_lshlrev_b32_sdwa v19, v6, v22 dst_sel:DWORD dst_unused:UNUSED_PAD src0_sel:DWORD src1_sel:WORD_1
	v_lshlrev_b32_e32 v16, 20, v16
	v_and_b32_e32 v19, 0x80000000, v19
	v_lshl_add_u32 v2, v2, 23, v46
	v_or3_b32 v19, v19, v2, v16
.LBB2_381:                              ;   in Loop: Header=BB2_114 Depth=3
	s_or_b64 exec, exec, s[54:55]
.LBB2_382:                              ;   in Loop: Header=BB2_114 Depth=3
	s_or_b64 exec, exec, s[52:53]
.LBB2_383:                              ;   in Loop: Header=BB2_114 Depth=3
	s_or_b64 exec, exec, s[50:51]
	v_max_f32_e32 v2, v19, v19
	v_max_f32_e32 v16, v17, v17
	;; [unrolled: 1-line block ×3, first 2 shown]
                                        ; implicit-def: $vgpr16
                                        ; implicit-def: $vgpr2
.LBB2_384:                              ;   in Loop: Header=BB2_114 Depth=3
	s_andn2_saveexec_b64 s[48:49], s[48:49]
	s_cbranch_execz .LBB2_398
; %bb.385:                              ;   in Loop: Header=BB2_114 Depth=3
	v_mov_b32_e32 v19, 0
	v_mov_b32_e32 v17, 0
	s_and_saveexec_b64 s[50:51], s[20:21]
	s_cbranch_execz .LBB2_391
; %bb.386:                              ;   in Loop: Header=BB2_114 Depth=3
	v_cmp_ne_u16_sdwa vcc, v16, s63 src0_sel:BYTE_0 src1_sel:DWORD
	v_bfrev_b32_e32 v17, 1
	s_and_saveexec_b64 s[20:21], vcc
	s_cbranch_execz .LBB2_390
; %bb.387:                              ;   in Loop: Header=BB2_114 Depth=3
	v_bfe_u32 v61, v18, 16, 7
	v_cmp_ne_u32_e32 vcc, s64, v61
	v_mov_b32_e32 v17, 0x7f800001
	s_and_saveexec_b64 s[52:53], vcc
	s_cbranch_execz .LBB2_389
; %bb.388:                              ;   in Loop: Header=BB2_114 Depth=3
	v_and_b32_e32 v17, 7, v16
	v_ffbh_u32_e32 v26, v17
	v_min_u32_e32 v37, 32, v26
	v_subrev_u32_e32 v26, 28, v37
	v_lshlrev_b64 v[26:27], v26, v[16:17]
	v_lshrrev_b32_e32 v36, 3, v61
	v_sub_u32_e32 v27, 29, v37
	v_and_b32_e32 v26, 7, v26
	v_cmp_gt_u32_e32 vcc, 8, v61
	v_cndmask_b32_e32 v27, v36, v27, vcc
	v_cndmask_b32_e32 v17, v17, v26, vcc
	v_lshlrev_b32_e32 v16, 24, v16
	v_lshlrev_b32_e32 v17, 20, v17
	v_and_b32_e32 v16, 0x80000000, v16
	v_lshl_add_u32 v26, v27, 23, v46
	v_or3_b32 v17, v16, v26, v17
.LBB2_389:                              ;   in Loop: Header=BB2_114 Depth=3
	s_or_b64 exec, exec, s[52:53]
.LBB2_390:                              ;   in Loop: Header=BB2_114 Depth=3
	s_or_b64 exec, exec, s[20:21]
.LBB2_391:                              ;   in Loop: Header=BB2_114 Depth=3
	s_or_b64 exec, exec, s[50:51]
	v_and_b32_sdwa v16, v22, s62 dst_sel:DWORD dst_unused:UNUSED_PAD src0_sel:WORD_1 src1_sel:DWORD
	v_cmp_ne_u16_e32 vcc, 0, v16
	s_and_saveexec_b64 s[20:21], vcc
	s_cbranch_execz .LBB2_397
; %bb.392:                              ;   in Loop: Header=BB2_114 Depth=3
	v_cmp_ne_u16_e32 vcc, s63, v16
	v_bfrev_b32_e32 v19, 1
	s_and_saveexec_b64 s[50:51], vcc
	s_cbranch_execz .LBB2_396
; %bb.393:                              ;   in Loop: Header=BB2_114 Depth=3
	v_bfe_u32 v16, v22, 16, 7
	v_cmp_ne_u32_e32 vcc, s64, v16
	v_mov_b32_e32 v19, 0x7f800001
	s_and_saveexec_b64 s[52:53], vcc
	s_cbranch_execz .LBB2_395
; %bb.394:                              ;   in Loop: Header=BB2_114 Depth=3
	v_and_b32_e32 v19, 7, v2
	v_ffbh_u32_e32 v26, v19
	v_min_u32_e32 v37, 32, v26
	v_subrev_u32_e32 v26, 28, v37
	v_lshlrev_b64 v[26:27], v26, v[2:3]
	v_lshrrev_b32_e32 v36, 3, v16
	v_sub_u32_e32 v2, 29, v37
	v_and_b32_e32 v26, 7, v26
	v_cmp_gt_u32_e32 vcc, 8, v16
	v_cndmask_b32_e32 v2, v36, v2, vcc
	v_cndmask_b32_e32 v16, v19, v26, vcc
	v_lshlrev_b32_sdwa v19, v6, v22 dst_sel:DWORD dst_unused:UNUSED_PAD src0_sel:DWORD src1_sel:WORD_1
	v_lshlrev_b32_e32 v16, 20, v16
	v_and_b32_e32 v19, 0x80000000, v19
	v_lshl_add_u32 v2, v2, 23, v46
	v_or3_b32 v19, v19, v2, v16
.LBB2_395:                              ;   in Loop: Header=BB2_114 Depth=3
	s_or_b64 exec, exec, s[52:53]
.LBB2_396:                              ;   in Loop: Header=BB2_114 Depth=3
	s_or_b64 exec, exec, s[50:51]
.LBB2_397:                              ;   in Loop: Header=BB2_114 Depth=3
	s_or_b64 exec, exec, s[20:21]
	v_max_f32_e32 v2, v19, v19
	v_max_f32_e32 v16, v17, v17
	v_min_f32_e32 v19, v16, v2
.LBB2_398:                              ;   in Loop: Header=BB2_114 Depth=3
	s_or_b64 exec, exec, s[48:49]
	v_and_b32_sdwa v2, v19, s63 dst_sel:DWORD dst_unused:UNUSED_PAD src0_sel:BYTE_3 src1_sel:DWORD
	v_and_b32_e32 v26, 0x7f800000, v19
	v_mov_b32_e32 v27, v23
	v_and_b32_e32 v16, 0x7fffff, v19
	v_mov_b32_e32 v17, v23
	v_or_b32_e32 v61, 0x7e, v2
	v_cmp_ne_u64_e32 vcc, s[38:39], v[26:27]
	s_and_saveexec_b64 s[20:21], vcc
	s_xor_b64 s[48:49], exec, s[20:21]
	s_cbranch_execz .LBB2_408
; %bb.399:                              ;   in Loop: Header=BB2_114 Depth=3
	v_and_b32_e32 v26, 0x7fffffff, v19
	v_mov_b32_e32 v27, v23
	v_cmp_gt_u64_e32 vcc, s[40:41], v[26:27]
	s_and_saveexec_b64 s[50:51], vcc
	s_cbranch_execz .LBB2_407
; %bb.400:                              ;   in Loop: Header=BB2_114 Depth=3
	v_cmp_ne_u32_e32 vcc, 0, v19
	v_mov_b32_e32 v61, 0
	s_and_saveexec_b64 s[52:53], vcc
	s_cbranch_execz .LBB2_406
; %bb.401:                              ;   in Loop: Header=BB2_114 Depth=3
	v_bfe_u32 v19, v19, 23, 8
	v_sub_u32_e32 v27, 0x79, v19
	v_cmp_gt_u32_e32 vcc, s65, v19
	v_cndmask_b32_e32 v27, 0, v27, vcc
	v_cmp_eq_u32_e32 vcc, 0, v19
	v_add_u32_e32 v26, 0xffffff81, v19
	v_cndmask_b32_e32 v40, v27, v30, vcc
	v_cndmask_b32_e32 v19, v26, v47, vcc
	v_add_u32_e32 v26, 20, v40
	v_or_b32_e32 v36, 0x800000, v16
	v_lshlrev_b64 v[26:27], v26, -1
	v_cndmask_b32_e32 v16, v36, v16, vcc
	v_not_b32_e32 v26, v26
	v_and_b32_e32 v26, v16, v26
	v_lshrrev_b64 v[16:17], v40, v[16:17]
	v_not_b32_e32 v27, v27
	v_add_u32_e32 v36, 19, v40
	v_lshrrev_b32_e32 v41, 23, v16
	v_and_b32_e32 v27, 0, v27
	v_lshlrev_b64 v[36:37], v36, 1
	v_add3_u32 v62, v40, v19, v41
	v_bfe_u32 v19, v16, 20, 1
	v_add_u32_e32 v19, -1, v19
	v_cmp_eq_u64_e32 vcc, v[26:27], v[36:37]
	v_cndmask_b32_e32 v19, 0, v19, vcc
	v_add_u32_e32 v19, v19, v16
	v_and_b32_e32 v19, 0xfffff, v19
	v_add_co_u32_e32 v16, vcc, v19, v16
	v_add_u32_e32 v61, 6, v62
	v_addc_co_u32_e32 v17, vcc, 0, v17, vcc
	v_cmp_ne_u32_e32 vcc, 0, v61
                                        ; implicit-def: $vgpr19
	s_and_saveexec_b64 s[20:21], vcc
	s_xor_b64 s[20:21], exec, s[20:21]
; %bb.402:                              ;   in Loop: Header=BB2_114 Depth=3
	v_cmp_lt_u64_e32 vcc, s[42:43], v[16:17]
	v_add_u32_e32 v19, 7, v62
	v_cndmask_b32_e64 v26, 0, 1, vcc
	v_cndmask_b32_e32 v19, v61, v19, vcc
	v_lshrrev_b64 v[16:17], v26, v[16:17]
; %bb.403:                              ;   in Loop: Header=BB2_114 Depth=3
	s_andn2_saveexec_b64 s[20:21], s[20:21]
; %bb.404:                              ;   in Loop: Header=BB2_114 Depth=3
	v_bfe_u32 v19, v16, 23, 1
; %bb.405:                              ;   in Loop: Header=BB2_114 Depth=3
	s_or_b64 exec, exec, s[20:21]
	v_lshrrev_b64 v[16:17], 20, v[16:17]
	v_cmp_gt_i32_e32 vcc, 16, v19
	v_cndmask_b32_e32 v17, 0, v17, vcc
	v_cndmask_b32_e32 v16, 7, v16, vcc
	v_cmp_eq_u64_e64 s[20:21], 0, v[16:17]
	v_min_i32_e32 v17, 15, v19
	v_lshlrev_b32_e32 v17, 3, v17
	v_cmp_eq_u32_e32 vcc, 0, v19
	v_and_b32_e32 v17, 0xf8, v17
	v_and_or_b32 v16, v16, 7, v17
	s_and_b64 s[20:21], vcc, s[20:21]
	v_cndmask_b32_e64 v16, v16, 0, s[20:21]
	v_or_b32_e32 v61, v16, v2
.LBB2_406:                              ;   in Loop: Header=BB2_114 Depth=3
	s_or_b64 exec, exec, s[52:53]
.LBB2_407:                              ;   in Loop: Header=BB2_114 Depth=3
	s_or_b64 exec, exec, s[50:51]
                                        ; implicit-def: $vgpr19
                                        ; implicit-def: $vgpr16_vgpr17
.LBB2_408:                              ;   in Loop: Header=BB2_114 Depth=3
	s_andn2_saveexec_b64 s[20:21], s[48:49]
; %bb.409:                              ;   in Loop: Header=BB2_114 Depth=3
	v_or_b32_sdwa v2, v19, s64 dst_sel:DWORD dst_unused:UNUSED_PAD src0_sel:BYTE_3 src1_sel:DWORD
	v_cmp_eq_u64_e32 vcc, 0, v[16:17]
	v_cndmask_b32_e32 v61, v2, v61, vcc
; %bb.410:                              ;   in Loop: Header=BB2_114 Depth=3
	s_or_b64 exec, exec, s[20:21]
	v_and_b32_e32 v26, 0xff000000, v18
	v_mov_b32_e32 v27, v23
	v_lshrrev_b32_e32 v16, 24, v18
	v_lshrrev_b32_e32 v2, 24, v22
	v_cmp_ne_u64_e32 vcc, 0, v[26:27]
                                        ; implicit-def: $vgpr17
	s_and_saveexec_b64 s[20:21], s[14:15]
	s_xor_b64 s[48:49], exec, s[20:21]
	s_cbranch_execz .LBB2_424
; %bb.411:                              ;   in Loop: Header=BB2_114 Depth=3
	v_mov_b32_e32 v19, 0
	v_mov_b32_e32 v17, 0
	s_and_saveexec_b64 s[50:51], vcc
	s_cbranch_execz .LBB2_417
; %bb.412:                              ;   in Loop: Header=BB2_114 Depth=3
	v_cmp_ne_u32_e64 s[20:21], s63, v16
	v_bfrev_b32_e32 v17, 1
	s_and_saveexec_b64 s[52:53], s[20:21]
	s_cbranch_execz .LBB2_416
; %bb.413:                              ;   in Loop: Header=BB2_114 Depth=3
	v_bfe_u32 v18, v18, 24, 7
	v_cmp_ne_u32_e64 s[20:21], s64, v18
	v_mov_b32_e32 v17, 0x7f800001
	s_and_saveexec_b64 s[54:55], s[20:21]
	s_cbranch_execz .LBB2_415
; %bb.414:                              ;   in Loop: Header=BB2_114 Depth=3
	v_and_b32_e32 v17, 7, v16
	v_ffbh_u32_e32 v26, v17
	v_min_u32_e32 v37, 32, v26
	v_subrev_u32_e32 v26, 28, v37
	v_lshlrev_b64 v[26:27], v26, v[16:17]
	v_lshrrev_b32_e32 v36, 3, v18
	v_sub_u32_e32 v27, 29, v37
	v_and_b32_e32 v26, 7, v26
	v_cmp_gt_u32_e64 s[20:21], 8, v18
	v_cndmask_b32_e64 v18, v36, v27, s[20:21]
	v_cndmask_b32_e64 v17, v17, v26, s[20:21]
	v_lshlrev_b32_e32 v16, 24, v16
	v_lshlrev_b32_e32 v17, 20, v17
	v_and_b32_e32 v16, 0x80000000, v16
	v_lshl_add_u32 v18, v18, 23, v46
	v_or3_b32 v17, v16, v18, v17
.LBB2_415:                              ;   in Loop: Header=BB2_114 Depth=3
	s_or_b64 exec, exec, s[54:55]
.LBB2_416:                              ;   in Loop: Header=BB2_114 Depth=3
	s_or_b64 exec, exec, s[52:53]
.LBB2_417:                              ;   in Loop: Header=BB2_114 Depth=3
	s_or_b64 exec, exec, s[50:51]
	v_cmp_lt_u32_e64 s[20:21], s66, v22
	s_and_saveexec_b64 s[50:51], s[20:21]
	s_cbranch_execz .LBB2_423
; %bb.418:                              ;   in Loop: Header=BB2_114 Depth=3
	v_cmp_ne_u32_sdwa s[20:21], v22, s63 src0_sel:BYTE_3 src1_sel:DWORD
	v_bfrev_b32_e32 v19, 1
	s_and_saveexec_b64 s[52:53], s[20:21]
	s_cbranch_execz .LBB2_422
; %bb.419:                              ;   in Loop: Header=BB2_114 Depth=3
	v_bfe_u32 v16, v22, 24, 7
	v_cmp_ne_u32_e64 s[20:21], s64, v16
	v_mov_b32_e32 v19, 0x7f800001
	s_and_saveexec_b64 s[54:55], s[20:21]
	s_cbranch_execz .LBB2_421
; %bb.420:                              ;   in Loop: Header=BB2_114 Depth=3
	v_and_b32_e32 v26, 7, v2
	v_ffbh_u32_e32 v18, v26
	v_min_u32_e32 v36, 32, v18
	v_subrev_u32_e32 v18, 28, v36
	v_lshlrev_b64 v[18:19], v18, v[2:3]
	v_lshrrev_b32_e32 v27, 3, v16
	v_sub_u32_e32 v2, 29, v36
	v_and_b32_e32 v18, 7, v18
	v_cmp_gt_u32_e64 s[20:21], 8, v16
	v_cndmask_b32_e64 v2, v27, v2, s[20:21]
	v_cndmask_b32_e64 v16, v26, v18, s[20:21]
	v_lshlrev_b32_sdwa v18, v6, v22 dst_sel:DWORD dst_unused:UNUSED_PAD src0_sel:DWORD src1_sel:BYTE_3
	v_lshlrev_b32_e32 v16, 20, v16
	v_and_b32_e32 v18, 0x80000000, v18
	v_lshl_add_u32 v2, v2, 23, v46
	v_or3_b32 v19, v18, v2, v16
.LBB2_421:                              ;   in Loop: Header=BB2_114 Depth=3
	s_or_b64 exec, exec, s[54:55]
.LBB2_422:                              ;   in Loop: Header=BB2_114 Depth=3
	s_or_b64 exec, exec, s[52:53]
.LBB2_423:                              ;   in Loop: Header=BB2_114 Depth=3
	s_or_b64 exec, exec, s[50:51]
	v_max_f32_e32 v2, v19, v19
	v_max_f32_e32 v16, v17, v17
	;; [unrolled: 1-line block ×3, first 2 shown]
                                        ; implicit-def: $vgpr16
                                        ; implicit-def: $vgpr2
                                        ; implicit-def: $vgpr18_vgpr19
.LBB2_424:                              ;   in Loop: Header=BB2_114 Depth=3
	s_andn2_saveexec_b64 s[20:21], s[48:49]
	s_cbranch_execz .LBB2_438
; %bb.425:                              ;   in Loop: Header=BB2_114 Depth=3
	v_mov_b32_e32 v19, 0
	v_mov_b32_e32 v17, 0
	s_and_saveexec_b64 s[48:49], vcc
	s_cbranch_execz .LBB2_431
; %bb.426:                              ;   in Loop: Header=BB2_114 Depth=3
	v_cmp_ne_u32_e32 vcc, s63, v16
	v_bfrev_b32_e32 v17, 1
	s_and_saveexec_b64 s[50:51], vcc
	s_cbranch_execz .LBB2_430
; %bb.427:                              ;   in Loop: Header=BB2_114 Depth=3
	v_bfe_u32 v18, v18, 24, 7
	v_cmp_ne_u32_e32 vcc, s64, v18
	v_mov_b32_e32 v17, 0x7f800001
	s_and_saveexec_b64 s[52:53], vcc
	s_cbranch_execz .LBB2_429
; %bb.428:                              ;   in Loop: Header=BB2_114 Depth=3
	v_and_b32_e32 v17, 7, v16
	v_ffbh_u32_e32 v26, v17
	v_min_u32_e32 v37, 32, v26
	v_subrev_u32_e32 v26, 28, v37
	v_lshlrev_b64 v[26:27], v26, v[16:17]
	v_lshrrev_b32_e32 v36, 3, v18
	v_sub_u32_e32 v27, 29, v37
	v_and_b32_e32 v26, 7, v26
	v_cmp_gt_u32_e32 vcc, 8, v18
	v_cndmask_b32_e32 v18, v36, v27, vcc
	v_cndmask_b32_e32 v17, v17, v26, vcc
	v_lshlrev_b32_e32 v16, 24, v16
	v_lshlrev_b32_e32 v17, 20, v17
	v_and_b32_e32 v16, 0x80000000, v16
	v_lshl_add_u32 v18, v18, 23, v46
	v_or3_b32 v17, v16, v18, v17
.LBB2_429:                              ;   in Loop: Header=BB2_114 Depth=3
	s_or_b64 exec, exec, s[52:53]
.LBB2_430:                              ;   in Loop: Header=BB2_114 Depth=3
	s_or_b64 exec, exec, s[50:51]
.LBB2_431:                              ;   in Loop: Header=BB2_114 Depth=3
	s_or_b64 exec, exec, s[48:49]
	v_cmp_lt_u32_e32 vcc, s66, v22
	s_and_saveexec_b64 s[48:49], vcc
	s_cbranch_execz .LBB2_437
; %bb.432:                              ;   in Loop: Header=BB2_114 Depth=3
	v_cmp_ne_u32_sdwa vcc, v22, s63 src0_sel:BYTE_3 src1_sel:DWORD
	v_bfrev_b32_e32 v19, 1
	s_and_saveexec_b64 s[50:51], vcc
	s_cbranch_execz .LBB2_436
; %bb.433:                              ;   in Loop: Header=BB2_114 Depth=3
	v_bfe_u32 v16, v22, 24, 7
	v_cmp_ne_u32_e32 vcc, s64, v16
	v_mov_b32_e32 v19, 0x7f800001
	s_and_saveexec_b64 s[52:53], vcc
	s_cbranch_execz .LBB2_435
; %bb.434:                              ;   in Loop: Header=BB2_114 Depth=3
	v_and_b32_e32 v26, 7, v2
	v_ffbh_u32_e32 v18, v26
	v_min_u32_e32 v36, 32, v18
	v_subrev_u32_e32 v18, 28, v36
	v_lshlrev_b64 v[18:19], v18, v[2:3]
	v_lshrrev_b32_e32 v27, 3, v16
	v_sub_u32_e32 v2, 29, v36
	v_and_b32_e32 v18, 7, v18
	v_cmp_gt_u32_e32 vcc, 8, v16
	v_cndmask_b32_e32 v2, v27, v2, vcc
	v_cndmask_b32_e32 v16, v26, v18, vcc
	v_lshlrev_b32_sdwa v18, v6, v22 dst_sel:DWORD dst_unused:UNUSED_PAD src0_sel:DWORD src1_sel:BYTE_3
	v_lshlrev_b32_e32 v16, 20, v16
	v_and_b32_e32 v18, 0x80000000, v18
	v_lshl_add_u32 v2, v2, 23, v46
	v_or3_b32 v19, v18, v2, v16
.LBB2_435:                              ;   in Loop: Header=BB2_114 Depth=3
	s_or_b64 exec, exec, s[52:53]
.LBB2_436:                              ;   in Loop: Header=BB2_114 Depth=3
	s_or_b64 exec, exec, s[50:51]
.LBB2_437:                              ;   in Loop: Header=BB2_114 Depth=3
	s_or_b64 exec, exec, s[48:49]
	v_max_f32_e32 v2, v19, v19
	v_max_f32_e32 v16, v17, v17
	v_min_f32_e32 v17, v16, v2
.LBB2_438:                              ;   in Loop: Header=BB2_114 Depth=3
	s_or_b64 exec, exec, s[20:21]
	v_and_b32_sdwa v2, v17, s63 dst_sel:DWORD dst_unused:UNUSED_PAD src0_sel:BYTE_3 src1_sel:DWORD
	v_and_b32_e32 v18, 0x7f800000, v17
	v_mov_b32_e32 v19, v23
	v_and_b32_e32 v22, 0x7fffff, v17
	v_or_b32_e32 v16, 0x7e, v2
	v_cmp_ne_u64_e32 vcc, s[38:39], v[18:19]
	s_and_saveexec_b64 s[20:21], vcc
	s_xor_b64 s[48:49], exec, s[20:21]
	s_cbranch_execz .LBB2_448
; %bb.439:                              ;   in Loop: Header=BB2_114 Depth=3
	v_and_b32_e32 v18, 0x7fffffff, v17
	v_mov_b32_e32 v19, v23
	v_cmp_gt_u64_e32 vcc, s[40:41], v[18:19]
	s_and_saveexec_b64 s[50:51], vcc
	s_cbranch_execz .LBB2_447
; %bb.440:                              ;   in Loop: Header=BB2_114 Depth=3
	v_cmp_ne_u32_e32 vcc, 0, v17
	v_mov_b32_e32 v16, 0
	s_and_saveexec_b64 s[52:53], vcc
	s_cbranch_execz .LBB2_446
; %bb.441:                              ;   in Loop: Header=BB2_114 Depth=3
	v_bfe_u32 v16, v17, 23, 8
	v_sub_u32_e32 v18, 0x79, v16
	v_cmp_gt_u32_e32 vcc, s65, v16
	v_cndmask_b32_e32 v18, 0, v18, vcc
	v_cmp_eq_u32_e32 vcc, 0, v16
	v_or_b32_e32 v19, 0x800000, v22
	v_cndmask_b32_e32 v18, v18, v30, vcc
	v_add_u32_e32 v17, 0xffffff81, v16
	v_cndmask_b32_e32 v22, v19, v22, vcc
	v_add_u32_e32 v16, 20, v18
	v_cndmask_b32_e32 v40, v17, v47, vcc
	v_lshlrev_b64 v[16:17], v16, -1
	v_add_u32_e32 v19, 19, v18
	v_lshrrev_b64 v[36:37], v18, v[22:23]
	v_not_b32_e32 v17, v17
	v_not_b32_e32 v16, v16
	v_lshlrev_b64 v[26:27], v19, 1
	v_lshrrev_b32_e32 v19, 23, v36
	v_and_b32_e32 v17, 0, v17
	v_and_b32_e32 v16, v22, v16
	v_add3_u32 v40, v18, v40, v19
	v_bfe_u32 v18, v36, 20, 1
	v_add_u32_e32 v18, -1, v18
	v_cmp_eq_u64_e32 vcc, v[16:17], v[26:27]
	v_cndmask_b32_e32 v16, 0, v18, vcc
	v_add_u32_e32 v16, v16, v36
	v_and_b32_e32 v16, 0xfffff, v16
	v_add_co_u32_e32 v16, vcc, v16, v36
	v_add_u32_e32 v19, 6, v40
	v_addc_co_u32_e32 v17, vcc, 0, v37, vcc
	v_cmp_ne_u32_e32 vcc, 0, v19
                                        ; implicit-def: $vgpr18
	s_and_saveexec_b64 s[20:21], vcc
	s_xor_b64 s[20:21], exec, s[20:21]
; %bb.442:                              ;   in Loop: Header=BB2_114 Depth=3
	v_add_u32_e32 v18, 7, v40
	v_cmp_lt_u64_e32 vcc, s[42:43], v[16:17]
	v_cndmask_b32_e32 v18, v19, v18, vcc
	v_cndmask_b32_e64 v19, 0, 1, vcc
	v_lshrrev_b64 v[16:17], v19, v[16:17]
; %bb.443:                              ;   in Loop: Header=BB2_114 Depth=3
	s_andn2_saveexec_b64 s[20:21], s[20:21]
; %bb.444:                              ;   in Loop: Header=BB2_114 Depth=3
	v_bfe_u32 v18, v16, 23, 1
; %bb.445:                              ;   in Loop: Header=BB2_114 Depth=3
	s_or_b64 exec, exec, s[20:21]
	v_lshrrev_b64 v[16:17], 20, v[16:17]
	v_cmp_gt_i32_e32 vcc, 16, v18
	v_cndmask_b32_e32 v17, 0, v17, vcc
	v_cndmask_b32_e32 v16, 7, v16, vcc
	v_cmp_eq_u64_e64 s[20:21], 0, v[16:17]
	v_min_i32_e32 v17, 15, v18
	v_lshlrev_b32_e32 v17, 3, v17
	v_cmp_eq_u32_e32 vcc, 0, v18
	v_and_b32_e32 v17, 0xf8, v17
	v_and_or_b32 v16, v16, 7, v17
	s_and_b64 s[20:21], vcc, s[20:21]
	v_cndmask_b32_e64 v16, v16, 0, s[20:21]
	v_or_b32_e32 v16, v16, v2
.LBB2_446:                              ;   in Loop: Header=BB2_114 Depth=3
	s_or_b64 exec, exec, s[52:53]
.LBB2_447:                              ;   in Loop: Header=BB2_114 Depth=3
	s_or_b64 exec, exec, s[50:51]
                                        ; implicit-def: $vgpr17
.LBB2_448:                              ;   in Loop: Header=BB2_114 Depth=3
	s_andn2_saveexec_b64 s[20:21], s[48:49]
	s_cbranch_execz .LBB2_113
; %bb.449:                              ;   in Loop: Header=BB2_114 Depth=3
	v_or_b32_sdwa v2, v17, s64 dst_sel:DWORD dst_unused:UNUSED_PAD src0_sel:BYTE_3 src1_sel:DWORD
	v_cmp_eq_u64_e32 vcc, 0, v[22:23]
	v_cndmask_b32_e32 v16, v2, v16, vcc
	s_branch .LBB2_113
.LBB2_450:                              ;   in Loop: Header=BB2_70 Depth=2
	s_or_b64 exec, exec, s[46:47]
	v_accvgpr_read_b32 v8, a40
	v_accvgpr_read_b32 v9, a41
	s_or_b64 exec, exec, s[44:45]
	s_and_saveexec_b64 s[20:21], s[10:11]
	s_cbranch_execz .LBB2_74
.LBB2_451:                              ;   in Loop: Header=BB2_70 Depth=2
	s_and_saveexec_b64 vcc, s[30:31]
	s_xor_b64 s[44:45], exec, vcc
	s_cbranch_execz .LBB2_466
; %bb.452:                              ;   in Loop: Header=BB2_70 Depth=2
	s_and_saveexec_b64 s[46:47], s[12:13]
	s_cbranch_execz .LBB2_465
; %bb.453:                              ;   in Loop: Header=BB2_70 Depth=2
	s_mov_b64 s[50:51], exec
	v_mbcnt_lo_u32_b32 v1, s50, 0
	v_mbcnt_hi_u32_b32 v1, s51, v1
	v_cmp_eq_u32_e32 vcc, 0, v1
	s_waitcnt vmcnt(0) lgkmcnt(0)
	buffer_wbinvl1_vol
	s_and_saveexec_b64 s[48:49], vcc
	s_cbranch_execz .LBB2_455
; %bb.454:                              ;   in Loop: Header=BB2_70 Depth=2
	s_bcnt1_i32_b64 vcc_lo, s[50:51]
	v_mov_b32_e32 v22, vcc_lo
	ds_add_u64 v0, v[22:23]
	s_trap 2
.LBB2_455:                              ;   in Loop: Header=BB2_70 Depth=2
	s_or_b64 exec, exec, s[48:49]
	s_trap 2
	ds_read_b64 v[2:3], v0
	v_accvgpr_read_b32 v4, a26
	v_add_co_u32_e32 v42, vcc, v42, v4
	v_accvgpr_read_b32 v1, a27
	v_addc_co_u32_e32 v43, vcc, v43, v1, vcc
	s_waitcnt lgkmcnt(0)
	v_cmp_lt_u64_e32 vcc, v[2:3], v[42:43]
	s_and_saveexec_b64 s[48:49], vcc
	s_cbranch_execz .LBB2_464
; %bb.456:                              ;   in Loop: Header=BB2_70 Depth=2
	s_mov_b32 s72, 0
	s_mov_b64 s[50:51], 0
                                        ; implicit-def: $sgpr52_sgpr53
                                        ; implicit-def: $sgpr54_sgpr55
	s_branch .LBB2_458
.LBB2_457:                              ;   in Loop: Header=BB2_458 Depth=3
	s_or_b64 exec, exec, s[58:59]
	s_and_b64 vcc, exec, vcc
	s_or_b64 s[50:51], vcc, s[50:51]
	s_andn2_b64 vcc, s[52:53], exec
	s_and_b64 s[52:53], s[54:55], exec
	s_or_b64 s[52:53], vcc, s[52:53]
	s_andn2_b64 exec, exec, s[50:51]
	s_cbranch_execz .LBB2_462
.LBB2_458:                              ;   Parent Loop BB2_21 Depth=1
                                        ;     Parent Loop BB2_70 Depth=2
                                        ; =>    This Inner Loop Header: Depth=3
	s_add_i32 s72, s72, 1
	s_cmpk_lg_i32 s72, 0x2710
	s_cselect_b64 s[56:57], -1, 0
	s_and_b64 vcc, exec, s[56:57]
                                        ; implicit-def: $sgpr58_sgpr59
	s_cbranch_vccnz .LBB2_460
; %bb.459:                              ;   in Loop: Header=BB2_458 Depth=3
	s_trap 2
	ds_read_b64 v[2:3], v0
	s_andn2_b64 s[56:57], s[56:57], exec
	s_mov_b32 s72, 0
	s_mov_b64 s[58:59], -1
	s_waitcnt lgkmcnt(0)
	flat_load_dword v1, v[2:3] glc
	s_waitcnt vmcnt(0) lgkmcnt(0)
	buffer_invl2
	buffer_wbinvl1_vol
	v_cmp_eq_u32_e32 vcc, 0, v1
	s_and_b64 vcc, vcc, exec
	s_or_b64 s[56:57], s[56:57], vcc
.LBB2_460:                              ;   in Loop: Header=BB2_458 Depth=3
	s_andn2_b64 s[54:55], s[54:55], exec
	s_and_b64 s[58:59], s[58:59], exec
	s_mov_b64 vcc, -1
	s_or_b64 s[54:55], s[54:55], s[58:59]
	s_and_saveexec_b64 s[58:59], s[56:57]
	s_cbranch_execz .LBB2_457
; %bb.461:                              ;   in Loop: Header=BB2_458 Depth=3
	s_sleep 1
	s_trap 2
	ds_read_b64 v[2:3], v0
	s_andn2_b64 s[54:55], s[54:55], exec
	s_waitcnt lgkmcnt(0)
	v_cmp_ge_u64_e32 vcc, v[2:3], v[42:43]
	s_orn2_b64 vcc, vcc, exec
	s_branch .LBB2_457
.LBB2_462:                              ;   in Loop: Header=BB2_70 Depth=2
	s_or_b64 exec, exec, s[50:51]
	s_and_saveexec_b64 vcc, s[52:53]
	s_xor_b64 vcc, exec, vcc
	s_cbranch_execz .LBB2_464
; %bb.463:                              ;   in Loop: Header=BB2_70 Depth=2
	v_mov_b32_e32 v1, 1
	ds_write_b32 v0, v1
	s_trap 2
.LBB2_464:                              ;   in Loop: Header=BB2_70 Depth=2
	s_or_b64 exec, exec, s[48:49]
	;;#ASMSTART
	s_wakeup
	;;#ASMEND
.LBB2_465:                              ;   in Loop: Header=BB2_70 Depth=2
	s_or_b64 exec, exec, s[46:47]
.LBB2_466:                              ;   in Loop: Header=BB2_70 Depth=2
	s_andn2_saveexec_b64 vcc, s[44:45]
	s_cbranch_execz .LBB2_468
; %bb.467:                              ;   in Loop: Header=BB2_70 Depth=2
	s_waitcnt vmcnt(0) lgkmcnt(0)
	buffer_wbinvl1_vol
	s_barrier
.LBB2_468:                              ;   in Loop: Header=BB2_70 Depth=2
	s_or_b64 exec, exec, vcc
	s_or_b64 exec, exec, s[20:21]
	s_and_saveexec_b64 s[20:21], s[16:17]
	s_cbranch_execnz .LBB2_75
	s_branch .LBB2_76
.LBB2_469:                              ;   in Loop: Header=BB2_21 Depth=1
	v_accvgpr_write_b32 a43, v1
	v_accvgpr_write_b32 a42, v2
	v_pk_mov_b32 v[16:17], v[28:29], v[28:29] op_sel:[0,1]
	s_branch .LBB2_471
.LBB2_470:                              ;   in Loop: Header=BB2_21 Depth=1
	v_accvgpr_read_b32 v55, a9
	v_pk_mov_b32 v[16:17], v[28:29], v[28:29] op_sel:[0,1]
	v_accvgpr_read_b32 v54, a8
.LBB2_471:                              ;   in Loop: Header=BB2_21 Depth=1
	v_accvgpr_read_b32 v4, a42
	v_accvgpr_read_b32 v5, a43
; %bb.472:                              ;   in Loop: Header=BB2_21 Depth=1
	s_and_saveexec_b64 s[20:21], s[18:19]
	s_cbranch_execz .LBB2_830
; %bb.473:                              ;   in Loop: Header=BB2_21 Depth=1
	v_accvgpr_read_b32 v0, a4
	v_accvgpr_read_b32 v1, a5
	flat_load_dword v8, v[0:1]
	s_waitcnt vmcnt(0) lgkmcnt(0)
	v_accvgpr_read_b32 v2, a10
	v_accvgpr_read_b32 v3, a11
	v_add_co_u32_e32 v2, vcc, v2, v4
	v_addc_co_u32_e32 v3, vcc, v3, v5, vcc
	v_accvgpr_read_b32 v0, a32
	v_add_co_u32_e32 v0, vcc, v0, v4
	v_and_b32_e32 v4, 7, v34
	v_accvgpr_read_b32 v1, a33
	v_mul_lo_u32 v4, v4, s60
	v_addc_co_u32_e32 v1, vcc, v1, v5, vcc
	v_ashrrev_i32_e32 v5, 31, v4
	v_lshlrev_b64 v[4:5], 4, v[4:5]
	v_accvgpr_read_b32 v10, a16
	v_accvgpr_read_b32 v11, a17
	v_add_co_u32_e32 v28, vcc, v10, v4
	v_addc_co_u32_e32 v29, vcc, v11, v5, vcc
	v_accvgpr_read_b32 v5, a23
	v_accvgpr_read_b32 v9, a22
	v_add_u32_e32 v25, 1, v34
	s_mov_b64 s[44:45], 0
	v_mov_b32_e32 v26, v44
	v_ashrrev_i32_e32 v4, 31, v8
	v_mul_lo_u32 v5, v5, v8
	v_mad_u64_u32 v[2:3], s[18:19], v9, v8, v[2:3]
	v_mul_lo_u32 v4, v9, v4
	v_add3_u32 v3, v5, v3, v4
	v_accvgpr_read_b32 v4, a28
	v_add_co_u32_e32 v18, vcc, v2, v4
	v_accvgpr_read_b32 v5, a29
	v_addc_co_u32_e32 v19, vcc, v3, v5, vcc
	s_branch .LBB2_475
.LBB2_474:                              ;   in Loop: Header=BB2_475 Depth=2
	v_add_co_u32_e32 v18, vcc, v18, v56
	v_addc_co_u32_e32 v19, vcc, v19, v45, vcc
	v_add_co_u32_e32 v0, vcc, v0, v56
	v_addc_co_u32_e32 v1, vcc, v1, v45, vcc
	v_sub_u32_e32 v21, v21, v56
	v_cmp_gt_i32_e32 vcc, 1, v21
	s_or_b64 s[44:45], vcc, s[44:45]
	v_add_u32_e32 v26, v26, v20
	s_andn2_b64 exec, exec, s[44:45]
	s_cbranch_execz .LBB2_829
.LBB2_475:                              ;   Parent Loop BB2_21 Depth=1
                                        ; =>  This Loop Header: Depth=2
                                        ;       Child Loop BB2_483 Depth 3
	v_and_b32_e32 v2, -4, v18
	v_mov_b32_e32 v3, v19
	global_load_dword v8, v[2:3], off glc slc
	v_min_u32_e32 v4, 8, v21
	v_and_b32_e32 v5, 3, v18
	v_add_co_u32_e32 v4, vcc, v5, v4
	v_addc_co_u32_e64 v5, s[18:19], 0, 0, vcc
	v_mov_b32_e32 v31, 0
	v_cmp_lt_u64_e32 vcc, 4, v[4:5]
	v_mov_b32_e32 v32, 0
	s_and_saveexec_b64 s[18:19], vcc
	s_cbranch_execz .LBB2_477
; %bb.476:                              ;   in Loop: Header=BB2_475 Depth=2
	global_load_dword v32, v[2:3], off offset:4 glc slc
.LBB2_477:                              ;   in Loop: Header=BB2_475 Depth=2
	s_or_b64 exec, exec, s[18:19]
	v_cmp_lt_u64_e32 vcc, 8, v[4:5]
	s_and_saveexec_b64 s[18:19], vcc
	s_cbranch_execz .LBB2_479
; %bb.478:                              ;   in Loop: Header=BB2_475 Depth=2
	global_load_dword v31, v[2:3], off offset:8 glc slc
.LBB2_479:                              ;   in Loop: Header=BB2_475 Depth=2
	s_or_b64 exec, exec, s[18:19]
	v_ashrrev_i32_e32 v27, 31, v26
	v_lshlrev_b64 v[2:3], 4, v[26:27]
	v_add_co_u32_e32 v10, vcc, v28, v2
	v_addc_co_u32_e32 v11, vcc, v29, v3, vcc
	global_load_dwordx4 v[2:5], v[10:11], off glc slc
	v_cmp_eq_u32_e32 vcc, 0, v7
	s_and_saveexec_b64 s[46:47], vcc
	s_cbranch_execz .LBB2_491
; %bb.480:                              ;   in Loop: Header=BB2_475 Depth=2
	s_waitcnt vmcnt(0)
	v_cmp_ne_u32_e32 vcc, v25, v3
	v_cmp_ne_u32_e64 s[18:19], v25, v5
	s_or_b64 s[18:19], vcc, s[18:19]
	v_mov_b32_e32 v7, 0
	s_and_saveexec_b64 s[48:49], s[18:19]
	s_cbranch_execz .LBB2_490
; %bb.481:                              ;   in Loop: Header=BB2_475 Depth=2
	s_mov_b32 s54, 1
	s_mov_b64 s[50:51], 0
	v_mov_b32_e32 v7, 0
	s_branch .LBB2_483
.LBB2_482:                              ;   in Loop: Header=BB2_483 Depth=3
	s_or_b64 exec, exec, s[52:53]
	s_and_b64 s[18:19], exec, s[18:19]
	s_or_b64 s[50:51], s[18:19], s[50:51]
	s_andn2_b64 exec, exec, s[50:51]
	s_cbranch_execz .LBB2_489
.LBB2_483:                              ;   Parent Loop BB2_21 Depth=1
                                        ;     Parent Loop BB2_475 Depth=2
                                        ; =>    This Inner Loop Header: Depth=3
	global_load_dwordx4 v[2:5], v[10:11], off glc slc
	s_add_i32 s54, s54, 1
	s_cmpk_lg_i32 s54, 0x2710
	s_cbranch_scc1 .LBB2_487
; %bb.484:                              ;   in Loop: Header=BB2_483 Depth=3
	s_trap 2
	ds_read_b64 v[48:49], v0
	s_waitcnt vmcnt(0) lgkmcnt(0)
	flat_load_dword v9, v[48:49] glc
	s_waitcnt vmcnt(0) lgkmcnt(0)
	buffer_invl2
	buffer_wbinvl1_vol
	v_cmp_ne_u32_e32 vcc, 0, v9
	s_and_saveexec_b64 s[18:19], vcc
	s_cbranch_execz .LBB2_486
; %bb.485:                              ;   in Loop: Header=BB2_483 Depth=3
	v_mov_b32_e32 v7, 1
	ds_write_b32 v0, v9
	s_trap 2
.LBB2_486:                              ;   in Loop: Header=BB2_483 Depth=3
	s_or_b64 exec, exec, s[18:19]
	s_mov_b32 s54, 0
	v_mov_b32_e32 v9, v7
	v_cmp_eq_u32_e32 vcc, 0, v9
	s_mov_b64 s[18:19], -1
	s_and_saveexec_b64 s[52:53], vcc
	s_cbranch_execz .LBB2_482
	s_branch .LBB2_488
.LBB2_487:                              ;   in Loop: Header=BB2_483 Depth=3
	v_mov_b32_e32 v9, 0
	v_cmp_eq_u32_e32 vcc, 0, v9
	s_mov_b64 s[18:19], -1
	s_and_saveexec_b64 s[52:53], vcc
	s_cbranch_execz .LBB2_482
.LBB2_488:                              ;   in Loop: Header=BB2_483 Depth=3
	s_waitcnt vmcnt(0)
	v_cmp_eq_u32_e32 vcc, v25, v3
	v_cmp_eq_u32_e64 s[18:19], v25, v5
	s_and_b64 s[18:19], vcc, s[18:19]
	s_orn2_b64 s[18:19], s[18:19], exec
	s_branch .LBB2_482
.LBB2_489:                              ;   in Loop: Header=BB2_475 Depth=2
	s_or_b64 exec, exec, s[50:51]
.LBB2_490:                              ;   in Loop: Header=BB2_475 Depth=2
	s_or_b64 exec, exec, s[48:49]
.LBB2_491:                              ;   in Loop: Header=BB2_475 Depth=2
	s_or_b64 exec, exec, s[46:47]
	s_waitcnt vmcnt(0)
	v_lshlrev_b32_e32 v5, 3, v18
	v_alignbit_b32 v22, v32, v8, v5
	v_cmp_ne_u16_sdwa s[18:19], v2, v23 src0_sel:BYTE_0 src1_sel:DWORD
                                        ; implicit-def: $vgpr9
	s_and_saveexec_b64 vcc, s[14:15]
	s_xor_b64 s[46:47], exec, vcc
	s_cbranch_execz .LBB2_505
; %bb.492:                              ;   in Loop: Header=BB2_475 Depth=2
	v_mov_b32_e32 v9, 0
	v_mov_b32_e32 v8, 0
	s_and_saveexec_b64 s[48:49], s[18:19]
	s_cbranch_execz .LBB2_498
; %bb.493:                              ;   in Loop: Header=BB2_475 Depth=2
	v_cmp_ne_u16_sdwa vcc, v2, s63 src0_sel:BYTE_0 src1_sel:DWORD
	v_bfrev_b32_e32 v8, 1
	s_and_saveexec_b64 s[50:51], vcc
	s_cbranch_execz .LBB2_497
; %bb.494:                              ;   in Loop: Header=BB2_475 Depth=2
	v_and_b32_e32 v10, 0x7f, v2
	v_cmp_ne_u32_e32 vcc, s64, v10
	v_mov_b32_e32 v8, 0x7f800001
	s_and_saveexec_b64 s[52:53], vcc
	s_cbranch_execz .LBB2_496
; %bb.495:                              ;   in Loop: Header=BB2_475 Depth=2
	v_and_b32_e32 v8, 7, v2
	v_ffbh_u32_e32 v8, v8
	v_min_u32_e32 v8, 32, v8
	v_subrev_u32_e32 v24, 28, v8
	v_cmp_gt_u32_e32 vcc, 8, v10
	v_lshrrev_b32_e32 v11, 3, v10
	v_sub_u32_e32 v8, 29, v8
	v_cndmask_b32_e32 v10, 0, v24, vcc
	v_cndmask_b32_e32 v8, v11, v8, vcc
	v_lshlrev_b64 v[10:11], v10, v[2:3]
	v_lshlrev_b32_e32 v10, 20, v10
	v_lshlrev_b32_e32 v11, 24, v2
	v_and_b32_e32 v10, 0x700000, v10
	v_and_b32_e32 v11, 0x80000000, v11
	v_lshl_add_u32 v8, v8, 23, v46
	v_or3_b32 v8, v11, v8, v10
.LBB2_496:                              ;   in Loop: Header=BB2_475 Depth=2
	s_or_b64 exec, exec, s[52:53]
.LBB2_497:                              ;   in Loop: Header=BB2_475 Depth=2
	s_or_b64 exec, exec, s[50:51]
.LBB2_498:                              ;   in Loop: Header=BB2_475 Depth=2
	s_or_b64 exec, exec, s[48:49]
	v_cmp_ne_u16_sdwa vcc, v22, v23 src0_sel:BYTE_0 src1_sel:DWORD
	s_and_saveexec_b64 s[48:49], vcc
	s_cbranch_execz .LBB2_504
; %bb.499:                              ;   in Loop: Header=BB2_475 Depth=2
	v_cmp_ne_u16_sdwa vcc, v22, s63 src0_sel:BYTE_0 src1_sel:DWORD
	v_bfrev_b32_e32 v9, 1
	s_and_saveexec_b64 s[50:51], vcc
	s_cbranch_execz .LBB2_503
; %bb.500:                              ;   in Loop: Header=BB2_475 Depth=2
	v_and_b32_e32 v10, 0x7f, v22
	v_cmp_ne_u32_e32 vcc, s64, v10
	v_mov_b32_e32 v9, 0x7f800001
	s_and_saveexec_b64 s[52:53], vcc
	s_cbranch_execz .LBB2_502
; %bb.501:                              ;   in Loop: Header=BB2_475 Depth=2
	v_and_b32_e32 v9, 7, v22
	v_ffbh_u32_e32 v9, v9
	v_min_u32_e32 v9, 32, v9
	v_subrev_u32_e32 v24, 28, v9
	v_cmp_gt_u32_e32 vcc, 8, v10
	v_lshrrev_b32_e32 v11, 3, v10
	v_sub_u32_e32 v9, 29, v9
	v_cndmask_b32_e32 v10, 0, v24, vcc
	v_cndmask_b32_e32 v9, v11, v9, vcc
	v_lshlrev_b64 v[10:11], v10, v[22:23]
	v_lshlrev_b32_e32 v10, 20, v10
	v_lshlrev_b32_e32 v11, 24, v22
	v_and_b32_e32 v10, 0x700000, v10
	v_and_b32_e32 v11, 0x80000000, v11
	v_lshl_add_u32 v9, v9, 23, v46
	v_or3_b32 v9, v11, v9, v10
.LBB2_502:                              ;   in Loop: Header=BB2_475 Depth=2
	s_or_b64 exec, exec, s[52:53]
.LBB2_503:                              ;   in Loop: Header=BB2_475 Depth=2
	s_or_b64 exec, exec, s[50:51]
.LBB2_504:                              ;   in Loop: Header=BB2_475 Depth=2
	s_or_b64 exec, exec, s[48:49]
	v_max_f32_e32 v9, v9, v9
	v_max_f32_e32 v8, v8, v8
	;; [unrolled: 1-line block ×3, first 2 shown]
.LBB2_505:                              ;   in Loop: Header=BB2_475 Depth=2
	s_andn2_saveexec_b64 s[46:47], s[46:47]
	s_cbranch_execz .LBB2_519
; %bb.506:                              ;   in Loop: Header=BB2_475 Depth=2
	v_mov_b32_e32 v9, 0
	v_mov_b32_e32 v8, 0
	s_and_saveexec_b64 s[48:49], s[18:19]
	s_cbranch_execz .LBB2_512
; %bb.507:                              ;   in Loop: Header=BB2_475 Depth=2
	v_cmp_ne_u16_sdwa vcc, v2, s63 src0_sel:BYTE_0 src1_sel:DWORD
	v_bfrev_b32_e32 v8, 1
	s_and_saveexec_b64 s[18:19], vcc
	s_cbranch_execz .LBB2_511
; %bb.508:                              ;   in Loop: Header=BB2_475 Depth=2
	v_and_b32_e32 v10, 0x7f, v2
	v_cmp_ne_u32_e32 vcc, s64, v10
	v_mov_b32_e32 v8, 0x7f800001
	s_and_saveexec_b64 s[50:51], vcc
	s_cbranch_execz .LBB2_510
; %bb.509:                              ;   in Loop: Header=BB2_475 Depth=2
	v_and_b32_e32 v8, 7, v2
	v_ffbh_u32_e32 v8, v8
	v_min_u32_e32 v8, 32, v8
	v_subrev_u32_e32 v24, 28, v8
	v_cmp_gt_u32_e32 vcc, 8, v10
	v_lshrrev_b32_e32 v11, 3, v10
	v_sub_u32_e32 v8, 29, v8
	v_cndmask_b32_e32 v10, 0, v24, vcc
	v_cndmask_b32_e32 v8, v11, v8, vcc
	v_lshlrev_b64 v[10:11], v10, v[2:3]
	v_lshlrev_b32_e32 v3, 20, v10
	v_lshlrev_b32_e32 v10, 24, v2
	v_and_b32_e32 v3, 0x700000, v3
	v_and_b32_e32 v10, 0x80000000, v10
	v_lshl_add_u32 v8, v8, 23, v46
	v_or3_b32 v8, v10, v8, v3
.LBB2_510:                              ;   in Loop: Header=BB2_475 Depth=2
	s_or_b64 exec, exec, s[50:51]
.LBB2_511:                              ;   in Loop: Header=BB2_475 Depth=2
	s_or_b64 exec, exec, s[18:19]
.LBB2_512:                              ;   in Loop: Header=BB2_475 Depth=2
	s_or_b64 exec, exec, s[48:49]
	v_cmp_ne_u16_sdwa vcc, v22, v23 src0_sel:BYTE_0 src1_sel:DWORD
	s_and_saveexec_b64 s[18:19], vcc
	s_cbranch_execz .LBB2_518
; %bb.513:                              ;   in Loop: Header=BB2_475 Depth=2
	v_cmp_ne_u16_sdwa vcc, v22, s63 src0_sel:BYTE_0 src1_sel:DWORD
	v_bfrev_b32_e32 v9, 1
	s_and_saveexec_b64 s[48:49], vcc
	s_cbranch_execz .LBB2_517
; %bb.514:                              ;   in Loop: Header=BB2_475 Depth=2
	v_and_b32_e32 v3, 0x7f, v22
	v_cmp_ne_u32_e32 vcc, s64, v3
	v_mov_b32_e32 v9, 0x7f800001
	s_and_saveexec_b64 s[50:51], vcc
	s_cbranch_execz .LBB2_516
; %bb.515:                              ;   in Loop: Header=BB2_475 Depth=2
	v_and_b32_e32 v9, 7, v22
	v_ffbh_u32_e32 v9, v9
	v_min_u32_e32 v9, 32, v9
	v_lshrrev_b32_e32 v10, 3, v3
	v_subrev_u32_e32 v11, 28, v9
	v_sub_u32_e32 v9, 29, v9
	v_cmp_gt_u32_e32 vcc, 8, v3
	v_cndmask_b32_e32 v3, v10, v9, vcc
	v_cndmask_b32_e32 v9, 0, v11, vcc
	v_lshlrev_b64 v[10:11], v9, v[22:23]
	v_lshlrev_b32_e32 v9, 20, v10
	v_lshlrev_b32_e32 v10, 24, v22
	v_and_b32_e32 v9, 0x700000, v9
	v_and_b32_e32 v10, 0x80000000, v10
	v_lshl_add_u32 v3, v3, 23, v46
	v_or3_b32 v9, v10, v3, v9
.LBB2_516:                              ;   in Loop: Header=BB2_475 Depth=2
	s_or_b64 exec, exec, s[50:51]
.LBB2_517:                              ;   in Loop: Header=BB2_475 Depth=2
	s_or_b64 exec, exec, s[48:49]
.LBB2_518:                              ;   in Loop: Header=BB2_475 Depth=2
	s_or_b64 exec, exec, s[18:19]
	v_max_f32_e32 v3, v9, v9
	v_max_f32_e32 v8, v8, v8
	v_min_f32_e32 v9, v8, v3
.LBB2_519:                              ;   in Loop: Header=BB2_475 Depth=2
	s_or_b64 exec, exec, s[46:47]
	v_and_b32_sdwa v3, v9, s63 dst_sel:DWORD dst_unused:UNUSED_PAD src0_sel:BYTE_3 src1_sel:DWORD
	v_and_b32_e32 v48, 0x7f800000, v9
	v_mov_b32_e32 v49, v23
	v_and_b32_e32 v10, 0x7fffff, v9
	v_mov_b32_e32 v11, v23
	v_or_b32_e32 v8, 0x7e, v3
	v_cmp_ne_u64_e32 vcc, s[38:39], v[48:49]
	s_and_saveexec_b64 s[18:19], vcc
	s_xor_b64 s[46:47], exec, s[18:19]
	s_cbranch_execz .LBB2_529
; %bb.520:                              ;   in Loop: Header=BB2_475 Depth=2
	v_and_b32_e32 v48, 0x7fffffff, v9
	v_mov_b32_e32 v49, v23
	v_cmp_gt_u64_e32 vcc, s[40:41], v[48:49]
	s_and_saveexec_b64 s[48:49], vcc
	s_cbranch_execz .LBB2_528
; %bb.521:                              ;   in Loop: Header=BB2_475 Depth=2
	v_cmp_ne_u32_e32 vcc, 0, v9
	v_mov_b32_e32 v8, 0
	s_and_saveexec_b64 s[50:51], vcc
	s_cbranch_execz .LBB2_527
; %bb.522:                              ;   in Loop: Header=BB2_475 Depth=2
	v_bfe_u32 v8, v9, 23, 8
	v_sub_u32_e32 v24, 0x79, v8
	v_cmp_gt_u32_e32 vcc, s65, v8
	v_cndmask_b32_e32 v24, 0, v24, vcc
	v_cmp_eq_u32_e32 vcc, 0, v8
	v_cndmask_b32_e32 v24, v24, v30, vcc
	v_add_u32_e32 v9, 0xffffff81, v8
	v_add_u32_e32 v8, 20, v24
	v_or_b32_e32 v27, 0x800000, v10
	v_cndmask_b32_e32 v33, v9, v47, vcc
	v_lshlrev_b64 v[8:9], v8, -1
	v_cndmask_b32_e32 v10, v27, v10, vcc
	v_not_b32_e32 v8, v8
	v_and_b32_e32 v48, v10, v8
	v_add_u32_e32 v8, 19, v24
	v_lshrrev_b64 v[10:11], v24, v[10:11]
	v_not_b32_e32 v9, v9
	v_lshlrev_b64 v[54:55], v8, 1
	v_lshrrev_b32_e32 v8, 23, v10
	v_and_b32_e32 v49, 0, v9
	v_add3_u32 v24, v24, v33, v8
	v_bfe_u32 v8, v10, 20, 1
	v_add_u32_e32 v8, -1, v8
	v_cmp_eq_u64_e32 vcc, v[48:49], v[54:55]
	v_cndmask_b32_e32 v8, 0, v8, vcc
	v_add_u32_e32 v8, v8, v10
	v_and_b32_e32 v8, 0xfffff, v8
	v_add_co_u32_e32 v10, vcc, v8, v10
	v_add_u32_e32 v9, 6, v24
	v_addc_co_u32_e32 v11, vcc, 0, v11, vcc
	v_cmp_ne_u32_e32 vcc, 0, v9
                                        ; implicit-def: $vgpr8
	s_and_saveexec_b64 s[18:19], vcc
	s_xor_b64 s[18:19], exec, s[18:19]
; %bb.523:                              ;   in Loop: Header=BB2_475 Depth=2
	v_add_u32_e32 v8, 7, v24
	v_cmp_lt_u64_e32 vcc, s[42:43], v[10:11]
	v_cndmask_b32_e32 v8, v9, v8, vcc
	v_cndmask_b32_e64 v9, 0, 1, vcc
	v_lshrrev_b64 v[10:11], v9, v[10:11]
; %bb.524:                              ;   in Loop: Header=BB2_475 Depth=2
	s_andn2_saveexec_b64 s[18:19], s[18:19]
; %bb.525:                              ;   in Loop: Header=BB2_475 Depth=2
	v_bfe_u32 v8, v10, 23, 1
; %bb.526:                              ;   in Loop: Header=BB2_475 Depth=2
	s_or_b64 exec, exec, s[18:19]
	v_lshrrev_b64 v[10:11], 20, v[10:11]
	v_cmp_gt_i32_e32 vcc, 16, v8
	v_cndmask_b32_e32 v11, 0, v11, vcc
	v_cndmask_b32_e32 v10, 7, v10, vcc
	v_cmp_eq_u32_e32 vcc, 0, v8
	v_min_i32_e32 v8, 15, v8
	v_cmp_eq_u64_e64 s[18:19], 0, v[10:11]
	v_lshlrev_b32_e32 v8, 3, v8
	v_and_or_b32 v8, v10, 7, v8
	s_and_b64 s[18:19], vcc, s[18:19]
	v_cndmask_b32_e64 v8, v8, 0, s[18:19]
	v_accvgpr_read_b32 v55, a9
	v_or_b32_e32 v8, v8, v3
	v_accvgpr_read_b32 v54, a8
.LBB2_527:                              ;   in Loop: Header=BB2_475 Depth=2
	s_or_b64 exec, exec, s[50:51]
.LBB2_528:                              ;   in Loop: Header=BB2_475 Depth=2
	s_or_b64 exec, exec, s[48:49]
                                        ; implicit-def: $vgpr9
                                        ; implicit-def: $vgpr10_vgpr11
.LBB2_529:                              ;   in Loop: Header=BB2_475 Depth=2
	s_andn2_saveexec_b64 s[18:19], s[46:47]
; %bb.530:                              ;   in Loop: Header=BB2_475 Depth=2
	v_or_b32_sdwa v3, v9, s64 dst_sel:DWORD dst_unused:UNUSED_PAD src0_sel:BYTE_3 src1_sel:DWORD
	v_cmp_eq_u64_e32 vcc, 0, v[10:11]
	v_cndmask_b32_e32 v8, v3, v8, vcc
; %bb.531:                              ;   in Loop: Header=BB2_475 Depth=2
	s_or_b64 exec, exec, s[18:19]
	v_lshrrev_b16_e32 v24, 8, v2
	v_lshrrev_b16_e32 v10, 8, v22
	v_cmp_ne_u16_e32 vcc, 0, v24
                                        ; implicit-def: $vgpr27
	s_and_saveexec_b64 s[18:19], s[14:15]
	s_xor_b64 s[46:47], exec, s[18:19]
	s_cbranch_execz .LBB2_545
; %bb.532:                              ;   in Loop: Header=BB2_475 Depth=2
	v_mov_b32_e32 v9, 0
	v_mov_b32_e32 v3, 0
	s_and_saveexec_b64 s[48:49], vcc
	s_cbranch_execz .LBB2_538
; %bb.533:                              ;   in Loop: Header=BB2_475 Depth=2
	v_cmp_ne_u16_e64 s[18:19], s63, v24
	v_bfrev_b32_e32 v3, 1
	s_and_saveexec_b64 s[50:51], s[18:19]
	s_cbranch_execz .LBB2_537
; %bb.534:                              ;   in Loop: Header=BB2_475 Depth=2
	v_and_b32_e32 v11, 0x7f, v24
	v_cmp_ne_u32_e64 s[18:19], s64, v11
	v_mov_b32_e32 v3, 0x7f800001
	s_and_saveexec_b64 s[52:53], s[18:19]
	s_cbranch_execz .LBB2_536
; %bb.535:                              ;   in Loop: Header=BB2_475 Depth=2
	v_and_b32_e32 v3, 7, v24
	v_ffbh_u32_e32 v33, v3
	v_min_u32_e32 v33, 32, v33
	v_subrev_u32_e32 v36, 28, v33
	v_lshlrev_b64 v[48:49], v36, v[24:25]
	v_lshrrev_b32_e32 v27, 3, v11
	v_sub_u32_e32 v24, 29, v33
	v_and_b32_e32 v33, 7, v48
	v_cmp_gt_u32_e64 s[18:19], 8, v11
	v_cndmask_b32_e64 v11, v27, v24, s[18:19]
	v_cndmask_b32_e64 v3, v3, v33, s[18:19]
	v_lshlrev_b32_e32 v24, 16, v2
	v_lshlrev_b32_e32 v3, 20, v3
	v_and_b32_e32 v24, 0x80000000, v24
	v_lshl_add_u32 v11, v11, 23, v46
	v_or3_b32 v3, v24, v11, v3
.LBB2_536:                              ;   in Loop: Header=BB2_475 Depth=2
	s_or_b64 exec, exec, s[52:53]
.LBB2_537:                              ;   in Loop: Header=BB2_475 Depth=2
	s_or_b64 exec, exec, s[50:51]
.LBB2_538:                              ;   in Loop: Header=BB2_475 Depth=2
	s_or_b64 exec, exec, s[48:49]
	v_cmp_ne_u16_e64 s[18:19], 0, v10
	s_and_saveexec_b64 s[48:49], s[18:19]
	s_cbranch_execz .LBB2_544
; %bb.539:                              ;   in Loop: Header=BB2_475 Depth=2
	v_cmp_ne_u16_e64 s[18:19], s63, v10
	v_bfrev_b32_e32 v9, 1
	s_and_saveexec_b64 s[50:51], s[18:19]
	s_cbranch_execz .LBB2_543
; %bb.540:                              ;   in Loop: Header=BB2_475 Depth=2
	v_and_b32_e32 v11, 0x7f, v10
	v_cmp_ne_u32_e64 s[18:19], s64, v11
	v_mov_b32_e32 v9, 0x7f800001
	s_and_saveexec_b64 s[52:53], s[18:19]
	s_cbranch_execz .LBB2_542
; %bb.541:                              ;   in Loop: Header=BB2_475 Depth=2
	v_and_b32_e32 v9, 7, v10
	v_ffbh_u32_e32 v27, v9
	v_min_u32_e32 v27, 32, v27
	v_subrev_u32_e32 v33, 28, v27
	v_lshlrev_b64 v[48:49], v33, v[10:11]
	v_lshrrev_b32_e32 v24, 3, v11
	v_sub_u32_e32 v10, 29, v27
	v_and_b32_e32 v27, 7, v48
	v_cmp_gt_u32_e64 s[18:19], 8, v11
	v_cndmask_b32_e64 v10, v24, v10, s[18:19]
	v_cndmask_b32_e64 v9, v9, v27, s[18:19]
	v_lshlrev_b32_e32 v11, 16, v22
	v_lshlrev_b32_e32 v9, 20, v9
	v_and_b32_e32 v11, 0x80000000, v11
	v_lshl_add_u32 v10, v10, 23, v46
	v_or3_b32 v9, v11, v10, v9
.LBB2_542:                              ;   in Loop: Header=BB2_475 Depth=2
	s_or_b64 exec, exec, s[52:53]
.LBB2_543:                              ;   in Loop: Header=BB2_475 Depth=2
	s_or_b64 exec, exec, s[50:51]
.LBB2_544:                              ;   in Loop: Header=BB2_475 Depth=2
	s_or_b64 exec, exec, s[48:49]
	v_max_f32_e32 v9, v9, v9
	v_max_f32_e32 v3, v3, v3
	;; [unrolled: 1-line block ×3, first 2 shown]
                                        ; implicit-def: $vgpr10
                                        ; implicit-def: $vgpr24
.LBB2_545:                              ;   in Loop: Header=BB2_475 Depth=2
	s_andn2_saveexec_b64 s[18:19], s[46:47]
	s_cbranch_execz .LBB2_559
; %bb.546:                              ;   in Loop: Header=BB2_475 Depth=2
	v_mov_b32_e32 v9, 0
	v_mov_b32_e32 v3, 0
	s_and_saveexec_b64 s[46:47], vcc
	s_cbranch_execz .LBB2_552
; %bb.547:                              ;   in Loop: Header=BB2_475 Depth=2
	v_cmp_ne_u16_e32 vcc, s63, v24
	v_bfrev_b32_e32 v3, 1
	s_and_saveexec_b64 s[48:49], vcc
	s_cbranch_execz .LBB2_551
; %bb.548:                              ;   in Loop: Header=BB2_475 Depth=2
	v_and_b32_e32 v11, 0x7f, v24
	v_cmp_ne_u32_e32 vcc, s64, v11
	v_mov_b32_e32 v3, 0x7f800001
	s_and_saveexec_b64 s[50:51], vcc
	s_cbranch_execz .LBB2_550
; %bb.549:                              ;   in Loop: Header=BB2_475 Depth=2
	v_and_b32_e32 v3, 7, v24
	v_ffbh_u32_e32 v33, v3
	v_min_u32_e32 v33, 32, v33
	v_subrev_u32_e32 v36, 28, v33
	v_lshlrev_b64 v[48:49], v36, v[24:25]
	v_lshrrev_b32_e32 v27, 3, v11
	v_sub_u32_e32 v24, 29, v33
	v_and_b32_e32 v33, 7, v48
	v_cmp_gt_u32_e32 vcc, 8, v11
	v_cndmask_b32_e32 v11, v27, v24, vcc
	v_cndmask_b32_e32 v3, v3, v33, vcc
	v_lshlrev_b32_e32 v24, 16, v2
	v_lshlrev_b32_e32 v3, 20, v3
	v_and_b32_e32 v24, 0x80000000, v24
	v_lshl_add_u32 v11, v11, 23, v46
	v_or3_b32 v3, v24, v11, v3
.LBB2_550:                              ;   in Loop: Header=BB2_475 Depth=2
	s_or_b64 exec, exec, s[50:51]
.LBB2_551:                              ;   in Loop: Header=BB2_475 Depth=2
	s_or_b64 exec, exec, s[48:49]
.LBB2_552:                              ;   in Loop: Header=BB2_475 Depth=2
	s_or_b64 exec, exec, s[46:47]
	v_cmp_ne_u16_e32 vcc, 0, v10
	s_and_saveexec_b64 s[46:47], vcc
	s_cbranch_execz .LBB2_558
; %bb.553:                              ;   in Loop: Header=BB2_475 Depth=2
	v_cmp_ne_u16_e32 vcc, s63, v10
	v_bfrev_b32_e32 v9, 1
	s_and_saveexec_b64 s[48:49], vcc
	s_cbranch_execz .LBB2_557
; %bb.554:                              ;   in Loop: Header=BB2_475 Depth=2
	v_and_b32_e32 v11, 0x7f, v10
	v_cmp_ne_u32_e32 vcc, s64, v11
	v_mov_b32_e32 v9, 0x7f800001
	s_and_saveexec_b64 s[50:51], vcc
	s_cbranch_execz .LBB2_556
; %bb.555:                              ;   in Loop: Header=BB2_475 Depth=2
	v_and_b32_e32 v9, 7, v10
	v_ffbh_u32_e32 v27, v9
	v_min_u32_e32 v27, 32, v27
	v_subrev_u32_e32 v33, 28, v27
	v_lshlrev_b64 v[48:49], v33, v[10:11]
	v_lshrrev_b32_e32 v24, 3, v11
	v_sub_u32_e32 v10, 29, v27
	v_and_b32_e32 v27, 7, v48
	v_cmp_gt_u32_e32 vcc, 8, v11
	v_cndmask_b32_e32 v10, v24, v10, vcc
	v_cndmask_b32_e32 v9, v9, v27, vcc
	v_lshlrev_b32_e32 v11, 16, v22
	v_lshlrev_b32_e32 v9, 20, v9
	v_and_b32_e32 v11, 0x80000000, v11
	v_lshl_add_u32 v10, v10, 23, v46
	v_or3_b32 v9, v11, v10, v9
.LBB2_556:                              ;   in Loop: Header=BB2_475 Depth=2
	s_or_b64 exec, exec, s[50:51]
.LBB2_557:                              ;   in Loop: Header=BB2_475 Depth=2
	s_or_b64 exec, exec, s[48:49]
.LBB2_558:                              ;   in Loop: Header=BB2_475 Depth=2
	s_or_b64 exec, exec, s[46:47]
	v_max_f32_e32 v9, v9, v9
	v_max_f32_e32 v3, v3, v3
	v_min_f32_e32 v27, v3, v9
.LBB2_559:                              ;   in Loop: Header=BB2_475 Depth=2
	s_or_b64 exec, exec, s[18:19]
	v_and_b32_sdwa v3, v27, s63 dst_sel:DWORD dst_unused:UNUSED_PAD src0_sel:BYTE_3 src1_sel:DWORD
	v_and_b32_e32 v48, 0x7f800000, v27
	v_mov_b32_e32 v49, v23
	v_and_b32_e32 v10, 0x7fffff, v27
	v_mov_b32_e32 v11, v23
	v_or_b32_e32 v9, 0x7e, v3
	v_cmp_ne_u64_e32 vcc, s[38:39], v[48:49]
	s_and_saveexec_b64 s[18:19], vcc
	s_xor_b64 s[46:47], exec, s[18:19]
	s_cbranch_execz .LBB2_569
; %bb.560:                              ;   in Loop: Header=BB2_475 Depth=2
	v_and_b32_e32 v48, 0x7fffffff, v27
	v_mov_b32_e32 v49, v23
	v_cmp_gt_u64_e32 vcc, s[40:41], v[48:49]
	s_and_saveexec_b64 s[48:49], vcc
	s_cbranch_execz .LBB2_568
; %bb.561:                              ;   in Loop: Header=BB2_475 Depth=2
	v_cmp_ne_u32_e32 vcc, 0, v27
	v_mov_b32_e32 v9, 0
	s_and_saveexec_b64 s[50:51], vcc
	s_cbranch_execz .LBB2_567
; %bb.562:                              ;   in Loop: Header=BB2_475 Depth=2
	v_bfe_u32 v9, v27, 23, 8
	v_cmp_eq_u32_e32 vcc, 0, v9
	v_add_u32_e32 v24, 0xffffff81, v9
	v_cmp_gt_u32_e64 s[18:19], s65, v9
	v_sub_u32_e32 v9, 0x79, v9
	v_cndmask_b32_e64 v9, 0, v9, s[18:19]
	v_or_b32_e32 v27, 0x800000, v10
	v_cndmask_b32_e32 v9, v9, v30, vcc
	v_cndmask_b32_e32 v10, v27, v10, vcc
	v_add_u32_e32 v27, 20, v9
	v_lshlrev_b64 v[48:49], v27, -1
	v_not_b32_e32 v27, v49
	v_not_b32_e32 v33, v48
	v_and_b32_e32 v49, 0, v27
	v_and_b32_e32 v48, v10, v33
	v_add_u32_e32 v27, 19, v9
	v_lshrrev_b64 v[10:11], v9, v[10:11]
	v_cndmask_b32_e32 v24, v24, v47, vcc
	v_lshlrev_b64 v[54:55], v27, 1
	v_lshrrev_b32_e32 v27, 23, v10
	v_add3_u32 v27, v9, v24, v27
	v_bfe_u32 v9, v10, 20, 1
	v_cmp_eq_u64_e32 vcc, v[48:49], v[54:55]
	v_add_u32_e32 v9, -1, v9
	v_cndmask_b32_e32 v9, 0, v9, vcc
	v_add_u32_e32 v9, v9, v10
	v_and_b32_e32 v9, 0xfffff, v9
	v_add_co_u32_e32 v10, vcc, v9, v10
	v_add_u32_e32 v24, 6, v27
	v_addc_co_u32_e32 v11, vcc, 0, v11, vcc
	v_cmp_ne_u32_e32 vcc, 0, v24
                                        ; implicit-def: $vgpr9
	s_and_saveexec_b64 s[18:19], vcc
	s_xor_b64 s[18:19], exec, s[18:19]
; %bb.563:                              ;   in Loop: Header=BB2_475 Depth=2
	v_add_u32_e32 v9, 7, v27
	v_cmp_lt_u64_e32 vcc, s[42:43], v[10:11]
	v_cndmask_b32_e32 v9, v24, v9, vcc
	v_cndmask_b32_e64 v24, 0, 1, vcc
	v_lshrrev_b64 v[10:11], v24, v[10:11]
; %bb.564:                              ;   in Loop: Header=BB2_475 Depth=2
	s_andn2_saveexec_b64 s[18:19], s[18:19]
; %bb.565:                              ;   in Loop: Header=BB2_475 Depth=2
	v_bfe_u32 v9, v10, 23, 1
; %bb.566:                              ;   in Loop: Header=BB2_475 Depth=2
	s_or_b64 exec, exec, s[18:19]
	v_lshrrev_b64 v[10:11], 20, v[10:11]
	v_cmp_gt_i32_e32 vcc, 16, v9
	v_cndmask_b32_e32 v11, 0, v11, vcc
	v_cndmask_b32_e32 v10, 7, v10, vcc
	v_cmp_eq_u32_e32 vcc, 0, v9
	v_min_i32_e32 v9, 15, v9
	v_cmp_eq_u64_e64 s[18:19], 0, v[10:11]
	v_lshlrev_b32_e32 v9, 3, v9
	v_and_or_b32 v9, v10, 7, v9
	s_and_b64 s[18:19], vcc, s[18:19]
	v_cndmask_b32_e64 v9, v9, 0, s[18:19]
	v_accvgpr_read_b32 v55, a9
	v_or_b32_e32 v9, v9, v3
	v_accvgpr_read_b32 v54, a8
.LBB2_567:                              ;   in Loop: Header=BB2_475 Depth=2
	s_or_b64 exec, exec, s[50:51]
.LBB2_568:                              ;   in Loop: Header=BB2_475 Depth=2
	s_or_b64 exec, exec, s[48:49]
                                        ; implicit-def: $vgpr27
                                        ; implicit-def: $vgpr10_vgpr11
.LBB2_569:                              ;   in Loop: Header=BB2_475 Depth=2
	s_andn2_saveexec_b64 s[18:19], s[46:47]
; %bb.570:                              ;   in Loop: Header=BB2_475 Depth=2
	v_or_b32_sdwa v3, v27, s64 dst_sel:DWORD dst_unused:UNUSED_PAD src0_sel:BYTE_3 src1_sel:DWORD
	v_cmp_eq_u64_e32 vcc, 0, v[10:11]
	v_cndmask_b32_e32 v9, v3, v9, vcc
; %bb.571:                              ;   in Loop: Header=BB2_475 Depth=2
	s_or_b64 exec, exec, s[18:19]
	v_lshrrev_b32_e32 v24, 16, v2
	v_lshrrev_b32_e32 v10, 16, v22
	v_cmp_ne_u16_sdwa s[18:19], v24, v23 src0_sel:BYTE_0 src1_sel:DWORD
                                        ; implicit-def: $vgpr33
	s_and_saveexec_b64 vcc, s[14:15]
	s_xor_b64 s[46:47], exec, vcc
	s_cbranch_execz .LBB2_585
; %bb.572:                              ;   in Loop: Header=BB2_475 Depth=2
	v_mov_b32_e32 v3, 0
	v_mov_b32_e32 v11, 0
	s_and_saveexec_b64 s[48:49], s[18:19]
	s_cbranch_execz .LBB2_578
; %bb.573:                              ;   in Loop: Header=BB2_475 Depth=2
	v_cmp_ne_u16_sdwa vcc, v24, s63 src0_sel:BYTE_0 src1_sel:DWORD
	v_bfrev_b32_e32 v11, 1
	s_and_saveexec_b64 s[50:51], vcc
	s_cbranch_execz .LBB2_577
; %bb.574:                              ;   in Loop: Header=BB2_475 Depth=2
	v_bfe_u32 v27, v2, 16, 7
	v_cmp_ne_u32_e32 vcc, s64, v27
	v_mov_b32_e32 v11, 0x7f800001
	s_and_saveexec_b64 s[52:53], vcc
	s_cbranch_execz .LBB2_576
; %bb.575:                              ;   in Loop: Header=BB2_475 Depth=2
	v_and_b32_e32 v11, 7, v24
	v_lshrrev_b32_e32 v33, 3, v27
	v_cmp_gt_u32_e32 vcc, 8, v27
	v_ffbh_u32_e32 v27, v11
	v_min_u32_e32 v27, 32, v27
	v_subrev_u32_e32 v36, 28, v27
	v_lshlrev_b64 v[48:49], v36, v[24:25]
	v_sub_u32_e32 v27, 29, v27
	v_and_b32_e32 v36, 7, v48
	v_cndmask_b32_e32 v27, v33, v27, vcc
	v_cndmask_b32_e32 v11, v11, v36, vcc
	v_lshlrev_b32_e32 v24, 24, v24
	v_lshlrev_b32_e32 v11, 20, v11
	v_and_b32_e32 v24, 0x80000000, v24
	v_lshl_add_u32 v27, v27, 23, v46
	v_or3_b32 v11, v24, v27, v11
.LBB2_576:                              ;   in Loop: Header=BB2_475 Depth=2
	s_or_b64 exec, exec, s[52:53]
.LBB2_577:                              ;   in Loop: Header=BB2_475 Depth=2
	s_or_b64 exec, exec, s[50:51]
.LBB2_578:                              ;   in Loop: Header=BB2_475 Depth=2
	s_or_b64 exec, exec, s[48:49]
	v_and_b32_sdwa v24, v22, s62 dst_sel:DWORD dst_unused:UNUSED_PAD src0_sel:WORD_1 src1_sel:DWORD
	v_cmp_ne_u16_e32 vcc, 0, v24
	s_and_saveexec_b64 s[48:49], vcc
	s_cbranch_execz .LBB2_584
; %bb.579:                              ;   in Loop: Header=BB2_475 Depth=2
	v_cmp_ne_u16_e32 vcc, s63, v24
	v_bfrev_b32_e32 v3, 1
	s_and_saveexec_b64 s[50:51], vcc
	s_cbranch_execz .LBB2_583
; %bb.580:                              ;   in Loop: Header=BB2_475 Depth=2
	v_bfe_u32 v24, v22, 16, 7
	v_cmp_ne_u32_e32 vcc, s64, v24
	v_mov_b32_e32 v3, 0x7f800001
	s_and_saveexec_b64 s[52:53], vcc
	s_cbranch_execz .LBB2_582
; %bb.581:                              ;   in Loop: Header=BB2_475 Depth=2
	v_and_b32_e32 v3, 7, v10
	v_ffbh_u32_e32 v33, v3
	v_min_u32_e32 v33, 32, v33
	v_subrev_u32_e32 v36, 28, v33
	v_lshlrev_b64 v[48:49], v36, v[10:11]
	v_lshrrev_b32_e32 v27, 3, v24
	v_sub_u32_e32 v10, 29, v33
	v_and_b32_e32 v33, 7, v48
	v_cmp_gt_u32_e32 vcc, 8, v24
	v_cndmask_b32_e32 v10, v27, v10, vcc
	v_cndmask_b32_e32 v3, v3, v33, vcc
	v_lshlrev_b32_sdwa v24, v6, v22 dst_sel:DWORD dst_unused:UNUSED_PAD src0_sel:DWORD src1_sel:WORD_1
	v_lshlrev_b32_e32 v3, 20, v3
	v_and_b32_e32 v24, 0x80000000, v24
	v_lshl_add_u32 v10, v10, 23, v46
	v_or3_b32 v3, v24, v10, v3
.LBB2_582:                              ;   in Loop: Header=BB2_475 Depth=2
	s_or_b64 exec, exec, s[52:53]
.LBB2_583:                              ;   in Loop: Header=BB2_475 Depth=2
	s_or_b64 exec, exec, s[50:51]
.LBB2_584:                              ;   in Loop: Header=BB2_475 Depth=2
	s_or_b64 exec, exec, s[48:49]
	v_max_f32_e32 v3, v3, v3
	v_max_f32_e32 v10, v11, v11
	;; [unrolled: 1-line block ×3, first 2 shown]
                                        ; implicit-def: $vgpr24
                                        ; implicit-def: $vgpr10
.LBB2_585:                              ;   in Loop: Header=BB2_475 Depth=2
	s_andn2_saveexec_b64 s[46:47], s[46:47]
	s_cbranch_execz .LBB2_599
; %bb.586:                              ;   in Loop: Header=BB2_475 Depth=2
	v_mov_b32_e32 v3, 0
	v_mov_b32_e32 v11, 0
	s_and_saveexec_b64 s[48:49], s[18:19]
	s_cbranch_execz .LBB2_592
; %bb.587:                              ;   in Loop: Header=BB2_475 Depth=2
	v_cmp_ne_u16_sdwa vcc, v24, s63 src0_sel:BYTE_0 src1_sel:DWORD
	v_bfrev_b32_e32 v11, 1
	s_and_saveexec_b64 s[18:19], vcc
	s_cbranch_execz .LBB2_591
; %bb.588:                              ;   in Loop: Header=BB2_475 Depth=2
	v_bfe_u32 v27, v2, 16, 7
	v_cmp_ne_u32_e32 vcc, s64, v27
	v_mov_b32_e32 v11, 0x7f800001
	s_and_saveexec_b64 s[50:51], vcc
	s_cbranch_execz .LBB2_590
; %bb.589:                              ;   in Loop: Header=BB2_475 Depth=2
	v_and_b32_e32 v11, 7, v24
	v_lshrrev_b32_e32 v33, 3, v27
	v_cmp_gt_u32_e32 vcc, 8, v27
	v_ffbh_u32_e32 v27, v11
	v_min_u32_e32 v27, 32, v27
	v_subrev_u32_e32 v36, 28, v27
	v_lshlrev_b64 v[48:49], v36, v[24:25]
	v_sub_u32_e32 v27, 29, v27
	v_and_b32_e32 v36, 7, v48
	v_cndmask_b32_e32 v27, v33, v27, vcc
	v_cndmask_b32_e32 v11, v11, v36, vcc
	v_lshlrev_b32_e32 v24, 24, v24
	v_lshlrev_b32_e32 v11, 20, v11
	v_and_b32_e32 v24, 0x80000000, v24
	v_lshl_add_u32 v27, v27, 23, v46
	v_or3_b32 v11, v24, v27, v11
.LBB2_590:                              ;   in Loop: Header=BB2_475 Depth=2
	s_or_b64 exec, exec, s[50:51]
.LBB2_591:                              ;   in Loop: Header=BB2_475 Depth=2
	s_or_b64 exec, exec, s[18:19]
.LBB2_592:                              ;   in Loop: Header=BB2_475 Depth=2
	s_or_b64 exec, exec, s[48:49]
	v_and_b32_sdwa v24, v22, s62 dst_sel:DWORD dst_unused:UNUSED_PAD src0_sel:WORD_1 src1_sel:DWORD
	v_cmp_ne_u16_e32 vcc, 0, v24
	s_and_saveexec_b64 s[18:19], vcc
	s_cbranch_execz .LBB2_598
; %bb.593:                              ;   in Loop: Header=BB2_475 Depth=2
	v_cmp_ne_u16_e32 vcc, s63, v24
	v_bfrev_b32_e32 v3, 1
	s_and_saveexec_b64 s[48:49], vcc
	s_cbranch_execz .LBB2_597
; %bb.594:                              ;   in Loop: Header=BB2_475 Depth=2
	v_bfe_u32 v24, v22, 16, 7
	v_cmp_ne_u32_e32 vcc, s64, v24
	v_mov_b32_e32 v3, 0x7f800001
	s_and_saveexec_b64 s[50:51], vcc
	s_cbranch_execz .LBB2_596
; %bb.595:                              ;   in Loop: Header=BB2_475 Depth=2
	v_and_b32_e32 v3, 7, v10
	v_ffbh_u32_e32 v33, v3
	v_min_u32_e32 v33, 32, v33
	v_subrev_u32_e32 v36, 28, v33
	v_lshlrev_b64 v[48:49], v36, v[10:11]
	v_lshrrev_b32_e32 v27, 3, v24
	v_sub_u32_e32 v10, 29, v33
	v_and_b32_e32 v33, 7, v48
	v_cmp_gt_u32_e32 vcc, 8, v24
	v_cndmask_b32_e32 v10, v27, v10, vcc
	v_cndmask_b32_e32 v3, v3, v33, vcc
	v_lshlrev_b32_sdwa v24, v6, v22 dst_sel:DWORD dst_unused:UNUSED_PAD src0_sel:DWORD src1_sel:WORD_1
	v_lshlrev_b32_e32 v3, 20, v3
	v_and_b32_e32 v24, 0x80000000, v24
	v_lshl_add_u32 v10, v10, 23, v46
	v_or3_b32 v3, v24, v10, v3
.LBB2_596:                              ;   in Loop: Header=BB2_475 Depth=2
	s_or_b64 exec, exec, s[50:51]
.LBB2_597:                              ;   in Loop: Header=BB2_475 Depth=2
	s_or_b64 exec, exec, s[48:49]
.LBB2_598:                              ;   in Loop: Header=BB2_475 Depth=2
	s_or_b64 exec, exec, s[18:19]
	v_max_f32_e32 v3, v3, v3
	v_max_f32_e32 v10, v11, v11
	v_min_f32_e32 v33, v10, v3
.LBB2_599:                              ;   in Loop: Header=BB2_475 Depth=2
	s_or_b64 exec, exec, s[46:47]
	v_and_b32_sdwa v3, v33, s63 dst_sel:DWORD dst_unused:UNUSED_PAD src0_sel:BYTE_3 src1_sel:DWORD
	v_and_b32_e32 v48, 0x7f800000, v33
	v_mov_b32_e32 v49, v23
	v_and_b32_e32 v10, 0x7fffff, v33
	v_mov_b32_e32 v11, v23
	v_or_b32_e32 v27, 0x7e, v3
	v_cmp_ne_u64_e32 vcc, s[38:39], v[48:49]
	s_and_saveexec_b64 s[18:19], vcc
	s_xor_b64 s[46:47], exec, s[18:19]
	s_cbranch_execz .LBB2_609
; %bb.600:                              ;   in Loop: Header=BB2_475 Depth=2
	v_and_b32_e32 v48, 0x7fffffff, v33
	v_mov_b32_e32 v49, v23
	v_cmp_gt_u64_e32 vcc, s[40:41], v[48:49]
	s_and_saveexec_b64 s[48:49], vcc
	s_cbranch_execz .LBB2_608
; %bb.601:                              ;   in Loop: Header=BB2_475 Depth=2
	v_cmp_ne_u32_e32 vcc, 0, v33
	v_mov_b32_e32 v27, 0
	s_and_saveexec_b64 s[50:51], vcc
	s_cbranch_execz .LBB2_607
; %bb.602:                              ;   in Loop: Header=BB2_475 Depth=2
	v_bfe_u32 v24, v33, 23, 8
	v_sub_u32_e32 v33, 0x79, v24
	v_cmp_gt_u32_e32 vcc, s65, v24
	v_add_u32_e32 v27, 0xffffff81, v24
	v_cndmask_b32_e32 v33, 0, v33, vcc
	v_cmp_eq_u32_e32 vcc, 0, v24
	v_cndmask_b32_e32 v24, v27, v47, vcc
	v_cndmask_b32_e32 v27, v33, v30, vcc
	v_add_u32_e32 v33, 20, v27
	v_or_b32_e32 v36, 0x800000, v10
	v_lshlrev_b64 v[48:49], v33, -1
	v_cndmask_b32_e32 v10, v36, v10, vcc
	v_not_b32_e32 v33, v49
	v_not_b32_e32 v36, v48
	v_and_b32_e32 v49, 0, v33
	v_and_b32_e32 v48, v10, v36
	v_add_u32_e32 v33, 19, v27
	v_lshrrev_b64 v[10:11], v27, v[10:11]
	v_lshlrev_b64 v[54:55], v33, 1
	v_lshrrev_b32_e32 v33, 23, v10
	v_add3_u32 v33, v27, v24, v33
	v_bfe_u32 v24, v10, 20, 1
	v_add_u32_e32 v24, -1, v24
	v_cmp_eq_u64_e32 vcc, v[48:49], v[54:55]
	v_cndmask_b32_e32 v24, 0, v24, vcc
	v_add_u32_e32 v24, v24, v10
	v_and_b32_e32 v24, 0xfffff, v24
	v_add_co_u32_e32 v10, vcc, v24, v10
	v_add_u32_e32 v27, 6, v33
	v_addc_co_u32_e32 v11, vcc, 0, v11, vcc
	v_cmp_ne_u32_e32 vcc, 0, v27
                                        ; implicit-def: $vgpr24
	s_and_saveexec_b64 s[18:19], vcc
	s_xor_b64 s[18:19], exec, s[18:19]
; %bb.603:                              ;   in Loop: Header=BB2_475 Depth=2
	v_add_u32_e32 v24, 7, v33
	v_cmp_lt_u64_e32 vcc, s[42:43], v[10:11]
	v_cndmask_b32_e32 v24, v27, v24, vcc
	v_cndmask_b32_e64 v27, 0, 1, vcc
	v_lshrrev_b64 v[10:11], v27, v[10:11]
; %bb.604:                              ;   in Loop: Header=BB2_475 Depth=2
	s_andn2_saveexec_b64 s[18:19], s[18:19]
; %bb.605:                              ;   in Loop: Header=BB2_475 Depth=2
	v_bfe_u32 v24, v10, 23, 1
; %bb.606:                              ;   in Loop: Header=BB2_475 Depth=2
	s_or_b64 exec, exec, s[18:19]
	v_lshrrev_b64 v[10:11], 20, v[10:11]
	v_cmp_gt_i32_e32 vcc, 16, v24
	v_cndmask_b32_e32 v11, 0, v11, vcc
	v_cndmask_b32_e32 v10, 7, v10, vcc
	v_cmp_eq_u64_e64 s[18:19], 0, v[10:11]
	v_min_i32_e32 v11, 15, v24
	v_cmp_eq_u32_e32 vcc, 0, v24
	v_lshlrev_b32_e32 v11, 3, v11
	v_and_or_b32 v10, v10, 7, v11
	s_and_b64 s[18:19], vcc, s[18:19]
	v_cndmask_b32_e64 v10, v10, 0, s[18:19]
	v_accvgpr_read_b32 v55, a9
	v_or_b32_e32 v27, v10, v3
	v_accvgpr_read_b32 v54, a8
.LBB2_607:                              ;   in Loop: Header=BB2_475 Depth=2
	s_or_b64 exec, exec, s[50:51]
.LBB2_608:                              ;   in Loop: Header=BB2_475 Depth=2
	s_or_b64 exec, exec, s[48:49]
                                        ; implicit-def: $vgpr33
                                        ; implicit-def: $vgpr10_vgpr11
.LBB2_609:                              ;   in Loop: Header=BB2_475 Depth=2
	s_andn2_saveexec_b64 s[18:19], s[46:47]
; %bb.610:                              ;   in Loop: Header=BB2_475 Depth=2
	v_or_b32_sdwa v3, v33, s64 dst_sel:DWORD dst_unused:UNUSED_PAD src0_sel:BYTE_3 src1_sel:DWORD
	v_cmp_eq_u64_e32 vcc, 0, v[10:11]
	v_cndmask_b32_e32 v27, v3, v27, vcc
; %bb.611:                              ;   in Loop: Header=BB2_475 Depth=2
	s_or_b64 exec, exec, s[18:19]
	v_lshrrev_b32_e32 v24, 24, v2
	v_lshrrev_b32_e32 v10, 24, v22
	v_cmp_lt_u32_e32 vcc, s66, v2
                                        ; implicit-def: $vgpr3
	s_and_saveexec_b64 s[18:19], s[14:15]
	s_xor_b64 s[46:47], exec, s[18:19]
	s_cbranch_execz .LBB2_625
; %bb.612:                              ;   in Loop: Header=BB2_475 Depth=2
	v_mov_b32_e32 v11, 0
	v_mov_b32_e32 v3, 0
	s_and_saveexec_b64 s[48:49], vcc
	s_cbranch_execz .LBB2_618
; %bb.613:                              ;   in Loop: Header=BB2_475 Depth=2
	v_cmp_ne_u32_e64 s[18:19], s63, v24
	v_bfrev_b32_e32 v3, 1
	s_and_saveexec_b64 s[50:51], s[18:19]
	s_cbranch_execz .LBB2_617
; %bb.614:                              ;   in Loop: Header=BB2_475 Depth=2
	v_bfe_u32 v2, v2, 24, 7
	v_cmp_ne_u32_e64 s[18:19], s64, v2
	v_mov_b32_e32 v3, 0x7f800001
	s_and_saveexec_b64 s[52:53], s[18:19]
	s_cbranch_execz .LBB2_616
; %bb.615:                              ;   in Loop: Header=BB2_475 Depth=2
	v_and_b32_e32 v3, 7, v24
	v_ffbh_u32_e32 v36, v3
	v_min_u32_e32 v36, 32, v36
	v_subrev_u32_e32 v37, 28, v36
	v_lshlrev_b64 v[48:49], v37, v[24:25]
	v_lshrrev_b32_e32 v33, 3, v2
	v_sub_u32_e32 v36, 29, v36
	v_and_b32_e32 v37, 7, v48
	v_cmp_gt_u32_e64 s[18:19], 8, v2
	v_cndmask_b32_e64 v2, v33, v36, s[18:19]
	v_cndmask_b32_e64 v3, v3, v37, s[18:19]
	v_lshlrev_b32_e32 v24, 24, v24
	v_lshlrev_b32_e32 v3, 20, v3
	v_and_b32_e32 v24, 0x80000000, v24
	v_lshl_add_u32 v2, v2, 23, v46
	v_or3_b32 v3, v24, v2, v3
.LBB2_616:                              ;   in Loop: Header=BB2_475 Depth=2
	s_or_b64 exec, exec, s[52:53]
.LBB2_617:                              ;   in Loop: Header=BB2_475 Depth=2
	s_or_b64 exec, exec, s[50:51]
.LBB2_618:                              ;   in Loop: Header=BB2_475 Depth=2
	s_or_b64 exec, exec, s[48:49]
	v_cmp_lt_u32_e64 s[18:19], s66, v22
	s_and_saveexec_b64 s[48:49], s[18:19]
	s_cbranch_execz .LBB2_624
; %bb.619:                              ;   in Loop: Header=BB2_475 Depth=2
	v_cmp_ne_u32_sdwa s[18:19], v22, s63 src0_sel:BYTE_3 src1_sel:DWORD
	v_bfrev_b32_e32 v11, 1
	s_and_saveexec_b64 s[50:51], s[18:19]
	s_cbranch_execz .LBB2_623
; %bb.620:                              ;   in Loop: Header=BB2_475 Depth=2
	v_bfe_u32 v2, v22, 24, 7
	v_cmp_ne_u32_e64 s[18:19], s64, v2
	v_mov_b32_e32 v11, 0x7f800001
	s_and_saveexec_b64 s[52:53], s[18:19]
	s_cbranch_execz .LBB2_622
; %bb.621:                              ;   in Loop: Header=BB2_475 Depth=2
	v_and_b32_e32 v24, 7, v10
	v_ffbh_u32_e32 v11, v24
	v_min_u32_e32 v36, 32, v11
	v_subrev_u32_e32 v11, 28, v36
	v_lshlrev_b64 v[10:11], v11, v[10:11]
	v_lshrrev_b32_e32 v33, 3, v2
	v_sub_u32_e32 v11, 29, v36
	v_and_b32_e32 v10, 7, v10
	v_cmp_gt_u32_e64 s[18:19], 8, v2
	v_cndmask_b32_e64 v2, v33, v11, s[18:19]
	v_cndmask_b32_e64 v10, v24, v10, s[18:19]
	v_lshlrev_b32_sdwa v11, v6, v22 dst_sel:DWORD dst_unused:UNUSED_PAD src0_sel:DWORD src1_sel:BYTE_3
	v_lshlrev_b32_e32 v10, 20, v10
	v_and_b32_e32 v11, 0x80000000, v11
	v_lshl_add_u32 v2, v2, 23, v46
	v_or3_b32 v11, v11, v2, v10
.LBB2_622:                              ;   in Loop: Header=BB2_475 Depth=2
	s_or_b64 exec, exec, s[52:53]
.LBB2_623:                              ;   in Loop: Header=BB2_475 Depth=2
	s_or_b64 exec, exec, s[50:51]
.LBB2_624:                              ;   in Loop: Header=BB2_475 Depth=2
	s_or_b64 exec, exec, s[48:49]
	v_max_f32_e32 v2, v11, v11
	v_max_f32_e32 v3, v3, v3
	;; [unrolled: 1-line block ×3, first 2 shown]
                                        ; implicit-def: $vgpr24
                                        ; implicit-def: $vgpr10
.LBB2_625:                              ;   in Loop: Header=BB2_475 Depth=2
	s_andn2_saveexec_b64 s[18:19], s[46:47]
	s_cbranch_execz .LBB2_639
; %bb.626:                              ;   in Loop: Header=BB2_475 Depth=2
	v_mov_b32_e32 v11, 0
	v_mov_b32_e32 v3, 0
	s_and_saveexec_b64 s[46:47], vcc
	s_cbranch_execz .LBB2_632
; %bb.627:                              ;   in Loop: Header=BB2_475 Depth=2
	v_cmp_ne_u32_e32 vcc, s63, v24
	v_bfrev_b32_e32 v3, 1
	s_and_saveexec_b64 s[48:49], vcc
	s_cbranch_execz .LBB2_631
; %bb.628:                              ;   in Loop: Header=BB2_475 Depth=2
	v_bfe_u32 v2, v2, 24, 7
	v_cmp_ne_u32_e32 vcc, s64, v2
	v_mov_b32_e32 v3, 0x7f800001
	s_and_saveexec_b64 s[50:51], vcc
	s_cbranch_execz .LBB2_630
; %bb.629:                              ;   in Loop: Header=BB2_475 Depth=2
	v_and_b32_e32 v3, 7, v24
	v_ffbh_u32_e32 v36, v3
	v_min_u32_e32 v36, 32, v36
	v_subrev_u32_e32 v37, 28, v36
	v_lshlrev_b64 v[48:49], v37, v[24:25]
	v_lshrrev_b32_e32 v33, 3, v2
	v_sub_u32_e32 v36, 29, v36
	v_and_b32_e32 v37, 7, v48
	v_cmp_gt_u32_e32 vcc, 8, v2
	v_cndmask_b32_e32 v2, v33, v36, vcc
	v_cndmask_b32_e32 v3, v3, v37, vcc
	v_lshlrev_b32_e32 v24, 24, v24
	v_lshlrev_b32_e32 v3, 20, v3
	v_and_b32_e32 v24, 0x80000000, v24
	v_lshl_add_u32 v2, v2, 23, v46
	v_or3_b32 v3, v24, v2, v3
.LBB2_630:                              ;   in Loop: Header=BB2_475 Depth=2
	s_or_b64 exec, exec, s[50:51]
.LBB2_631:                              ;   in Loop: Header=BB2_475 Depth=2
	s_or_b64 exec, exec, s[48:49]
.LBB2_632:                              ;   in Loop: Header=BB2_475 Depth=2
	s_or_b64 exec, exec, s[46:47]
	v_cmp_lt_u32_e32 vcc, s66, v22
	s_and_saveexec_b64 s[46:47], vcc
	s_cbranch_execz .LBB2_638
; %bb.633:                              ;   in Loop: Header=BB2_475 Depth=2
	v_cmp_ne_u32_sdwa vcc, v22, s63 src0_sel:BYTE_3 src1_sel:DWORD
	v_bfrev_b32_e32 v11, 1
	s_and_saveexec_b64 s[48:49], vcc
	s_cbranch_execz .LBB2_637
; %bb.634:                              ;   in Loop: Header=BB2_475 Depth=2
	v_bfe_u32 v2, v22, 24, 7
	v_cmp_ne_u32_e32 vcc, s64, v2
	v_mov_b32_e32 v11, 0x7f800001
	s_and_saveexec_b64 s[50:51], vcc
	s_cbranch_execz .LBB2_636
; %bb.635:                              ;   in Loop: Header=BB2_475 Depth=2
	v_and_b32_e32 v24, 7, v10
	v_ffbh_u32_e32 v11, v24
	v_min_u32_e32 v36, 32, v11
	v_subrev_u32_e32 v11, 28, v36
	v_lshlrev_b64 v[10:11], v11, v[10:11]
	v_lshrrev_b32_e32 v33, 3, v2
	v_sub_u32_e32 v11, 29, v36
	v_and_b32_e32 v10, 7, v10
	v_cmp_gt_u32_e32 vcc, 8, v2
	v_cndmask_b32_e32 v2, v33, v11, vcc
	v_cndmask_b32_e32 v10, v24, v10, vcc
	v_lshlrev_b32_sdwa v11, v6, v22 dst_sel:DWORD dst_unused:UNUSED_PAD src0_sel:DWORD src1_sel:BYTE_3
	v_lshlrev_b32_e32 v10, 20, v10
	v_and_b32_e32 v11, 0x80000000, v11
	v_lshl_add_u32 v2, v2, 23, v46
	v_or3_b32 v11, v11, v2, v10
.LBB2_636:                              ;   in Loop: Header=BB2_475 Depth=2
	s_or_b64 exec, exec, s[50:51]
.LBB2_637:                              ;   in Loop: Header=BB2_475 Depth=2
	s_or_b64 exec, exec, s[48:49]
.LBB2_638:                              ;   in Loop: Header=BB2_475 Depth=2
	s_or_b64 exec, exec, s[46:47]
	v_max_f32_e32 v2, v11, v11
	v_max_f32_e32 v3, v3, v3
	v_min_f32_e32 v3, v3, v2
.LBB2_639:                              ;   in Loop: Header=BB2_475 Depth=2
	s_or_b64 exec, exec, s[18:19]
	v_and_b32_sdwa v10, v3, s63 dst_sel:DWORD dst_unused:UNUSED_PAD src0_sel:BYTE_3 src1_sel:DWORD
	v_and_b32_e32 v48, 0x7f800000, v3
	v_mov_b32_e32 v49, v23
	v_and_b32_e32 v22, 0x7fffff, v3
	v_or_b32_e32 v11, 0x7e, v10
	v_cmp_ne_u64_e32 vcc, s[38:39], v[48:49]
	s_and_saveexec_b64 s[18:19], vcc
	s_xor_b64 s[46:47], exec, s[18:19]
	s_cbranch_execz .LBB2_649
; %bb.640:                              ;   in Loop: Header=BB2_475 Depth=2
	v_and_b32_e32 v48, 0x7fffffff, v3
	v_mov_b32_e32 v49, v23
	v_cmp_gt_u64_e32 vcc, s[40:41], v[48:49]
	s_and_saveexec_b64 s[48:49], vcc
	s_cbranch_execz .LBB2_648
; %bb.641:                              ;   in Loop: Header=BB2_475 Depth=2
	v_cmp_ne_u32_e32 vcc, 0, v3
	v_mov_b32_e32 v11, 0
	s_and_saveexec_b64 s[50:51], vcc
	s_cbranch_execz .LBB2_647
; %bb.642:                              ;   in Loop: Header=BB2_475 Depth=2
	v_bfe_u32 v2, v3, 23, 8
	v_sub_u32_e32 v11, 0x79, v2
	v_cmp_gt_u32_e32 vcc, s65, v2
	v_cndmask_b32_e32 v11, 0, v11, vcc
	v_cmp_eq_u32_e32 vcc, 0, v2
	v_cndmask_b32_e32 v11, v11, v30, vcc
	v_add_u32_e32 v3, 0xffffff81, v2
	v_or_b32_e32 v24, 0x800000, v22
	v_add_u32_e32 v2, 20, v11
	v_cndmask_b32_e32 v33, v3, v47, vcc
	v_cndmask_b32_e32 v22, v24, v22, vcc
	v_lshlrev_b64 v[2:3], v2, -1
	v_not_b32_e32 v2, v2
	v_lshrrev_b64 v[54:55], v11, v[22:23]
	v_not_b32_e32 v3, v3
	v_and_b32_e32 v2, v22, v2
	v_add_u32_e32 v24, 19, v11
	v_lshrrev_b32_e32 v22, 23, v54
	v_and_b32_e32 v3, 0, v3
	v_lshlrev_b64 v[48:49], v24, 1
	v_add3_u32 v33, v11, v33, v22
	v_bfe_u32 v11, v54, 20, 1
	v_add_u32_e32 v11, -1, v11
	v_cmp_eq_u64_e32 vcc, v[2:3], v[48:49]
	v_cndmask_b32_e32 v2, 0, v11, vcc
	v_add_u32_e32 v2, v2, v54
	v_and_b32_e32 v2, 0xfffff, v2
	v_add_co_u32_e32 v2, vcc, v2, v54
	v_add_u32_e32 v24, 6, v33
	v_addc_co_u32_e32 v3, vcc, 0, v55, vcc
	v_cmp_ne_u32_e32 vcc, 0, v24
                                        ; implicit-def: $vgpr11
	s_and_saveexec_b64 s[18:19], vcc
	s_xor_b64 s[18:19], exec, s[18:19]
; %bb.643:                              ;   in Loop: Header=BB2_475 Depth=2
	v_cmp_lt_u64_e32 vcc, s[42:43], v[2:3]
	v_add_u32_e32 v11, 7, v33
	v_cndmask_b32_e64 v22, 0, 1, vcc
	v_cndmask_b32_e32 v11, v24, v11, vcc
	v_lshrrev_b64 v[2:3], v22, v[2:3]
; %bb.644:                              ;   in Loop: Header=BB2_475 Depth=2
	s_andn2_saveexec_b64 s[18:19], s[18:19]
; %bb.645:                              ;   in Loop: Header=BB2_475 Depth=2
	v_bfe_u32 v11, v2, 23, 1
; %bb.646:                              ;   in Loop: Header=BB2_475 Depth=2
	s_or_b64 exec, exec, s[18:19]
	v_lshrrev_b64 v[2:3], 20, v[2:3]
	v_cmp_gt_i32_e32 vcc, 16, v11
	v_cndmask_b32_e32 v3, 0, v3, vcc
	v_cndmask_b32_e32 v2, 7, v2, vcc
	v_cmp_eq_u64_e64 s[18:19], 0, v[2:3]
	v_min_i32_e32 v3, 15, v11
	v_cmp_eq_u32_e32 vcc, 0, v11
	v_lshlrev_b32_e32 v3, 3, v3
	v_and_or_b32 v2, v2, 7, v3
	s_and_b64 s[18:19], vcc, s[18:19]
	v_cndmask_b32_e64 v2, v2, 0, s[18:19]
	v_accvgpr_read_b32 v55, a9
	v_or_b32_e32 v11, v2, v10
	v_accvgpr_read_b32 v54, a8
.LBB2_647:                              ;   in Loop: Header=BB2_475 Depth=2
	s_or_b64 exec, exec, s[50:51]
.LBB2_648:                              ;   in Loop: Header=BB2_475 Depth=2
	s_or_b64 exec, exec, s[48:49]
                                        ; implicit-def: $vgpr3
.LBB2_649:                              ;   in Loop: Header=BB2_475 Depth=2
	s_andn2_saveexec_b64 s[18:19], s[46:47]
; %bb.650:                              ;   in Loop: Header=BB2_475 Depth=2
	v_or_b32_sdwa v2, v3, s64 dst_sel:DWORD dst_unused:UNUSED_PAD src0_sel:BYTE_3 src1_sel:DWORD
	v_cmp_eq_u64_e32 vcc, 0, v[22:23]
	v_cndmask_b32_e32 v11, v2, v11, vcc
; %bb.651:                              ;   in Loop: Header=BB2_475 Depth=2
	s_or_b64 exec, exec, s[18:19]
	v_alignbit_b32 v22, v31, v32, v5
	v_mov_b32_e32 v5, v23
	v_cmp_ne_u16_sdwa s[18:19], v4, v23 src0_sel:BYTE_0 src1_sel:DWORD
                                        ; implicit-def: $vgpr10
	s_and_saveexec_b64 vcc, s[14:15]
	s_xor_b64 s[46:47], exec, vcc
	s_cbranch_execz .LBB2_665
; %bb.652:                              ;   in Loop: Header=BB2_475 Depth=2
	v_mov_b32_e32 v3, 0
	v_mov_b32_e32 v2, 0
	s_and_saveexec_b64 s[48:49], s[18:19]
	s_cbranch_execz .LBB2_658
; %bb.653:                              ;   in Loop: Header=BB2_475 Depth=2
	v_cmp_ne_u16_sdwa vcc, v4, s63 src0_sel:BYTE_0 src1_sel:DWORD
	v_bfrev_b32_e32 v2, 1
	s_and_saveexec_b64 s[50:51], vcc
	s_cbranch_execz .LBB2_657
; %bb.654:                              ;   in Loop: Header=BB2_475 Depth=2
	v_and_b32_e32 v10, 0x7f, v4
	v_cmp_ne_u32_e32 vcc, s64, v10
	v_mov_b32_e32 v2, 0x7f800001
	s_and_saveexec_b64 s[52:53], vcc
	s_cbranch_execz .LBB2_656
; %bb.655:                              ;   in Loop: Header=BB2_475 Depth=2
	v_and_b32_e32 v2, 7, v4
	v_ffbh_u32_e32 v2, v2
	v_min_u32_e32 v2, 32, v2
	v_subrev_u32_e32 v31, 28, v2
	v_cmp_gt_u32_e32 vcc, 8, v10
	v_lshrrev_b32_e32 v24, 3, v10
	v_cndmask_b32_e32 v10, 0, v31, vcc
	v_sub_u32_e32 v2, 29, v2
	v_lshlrev_b64 v[32:33], v10, v[4:5]
	v_cndmask_b32_e32 v2, v24, v2, vcc
	v_lshlrev_b32_e32 v5, 20, v32
	v_lshlrev_b32_e32 v10, 24, v4
	v_and_b32_e32 v5, 0x700000, v5
	v_and_b32_e32 v10, 0x80000000, v10
	v_lshl_add_u32 v2, v2, 23, v46
	v_or3_b32 v2, v10, v2, v5
.LBB2_656:                              ;   in Loop: Header=BB2_475 Depth=2
	s_or_b64 exec, exec, s[52:53]
.LBB2_657:                              ;   in Loop: Header=BB2_475 Depth=2
	s_or_b64 exec, exec, s[50:51]
.LBB2_658:                              ;   in Loop: Header=BB2_475 Depth=2
	s_or_b64 exec, exec, s[48:49]
	v_cmp_ne_u16_sdwa vcc, v22, v23 src0_sel:BYTE_0 src1_sel:DWORD
	s_and_saveexec_b64 s[48:49], vcc
	s_cbranch_execz .LBB2_664
; %bb.659:                              ;   in Loop: Header=BB2_475 Depth=2
	v_cmp_ne_u16_sdwa vcc, v22, s63 src0_sel:BYTE_0 src1_sel:DWORD
	v_bfrev_b32_e32 v3, 1
	s_and_saveexec_b64 s[50:51], vcc
	s_cbranch_execz .LBB2_663
; %bb.660:                              ;   in Loop: Header=BB2_475 Depth=2
	v_and_b32_e32 v5, 0x7f, v22
	v_cmp_ne_u32_e32 vcc, s64, v5
	v_mov_b32_e32 v3, 0x7f800001
	s_and_saveexec_b64 s[52:53], vcc
	s_cbranch_execz .LBB2_662
; %bb.661:                              ;   in Loop: Header=BB2_475 Depth=2
	v_and_b32_e32 v3, 7, v22
	v_ffbh_u32_e32 v3, v3
	v_min_u32_e32 v3, 32, v3
	v_subrev_u32_e32 v24, 28, v3
	v_cmp_gt_u32_e32 vcc, 8, v5
	v_lshrrev_b32_e32 v10, 3, v5
	v_cndmask_b32_e32 v5, 0, v24, vcc
	v_sub_u32_e32 v3, 29, v3
	v_lshlrev_b64 v[32:33], v5, v[22:23]
	v_cndmask_b32_e32 v3, v10, v3, vcc
	v_lshlrev_b32_e32 v5, 20, v32
	v_lshlrev_b32_e32 v10, 24, v22
	v_and_b32_e32 v5, 0x700000, v5
	v_and_b32_e32 v10, 0x80000000, v10
	v_lshl_add_u32 v3, v3, 23, v46
	v_or3_b32 v3, v10, v3, v5
.LBB2_662:                              ;   in Loop: Header=BB2_475 Depth=2
	s_or_b64 exec, exec, s[52:53]
.LBB2_663:                              ;   in Loop: Header=BB2_475 Depth=2
	s_or_b64 exec, exec, s[50:51]
.LBB2_664:                              ;   in Loop: Header=BB2_475 Depth=2
	s_or_b64 exec, exec, s[48:49]
	v_max_f32_e32 v3, v3, v3
	v_max_f32_e32 v2, v2, v2
	;; [unrolled: 1-line block ×3, first 2 shown]
.LBB2_665:                              ;   in Loop: Header=BB2_475 Depth=2
	s_andn2_saveexec_b64 s[46:47], s[46:47]
	s_cbranch_execz .LBB2_679
; %bb.666:                              ;   in Loop: Header=BB2_475 Depth=2
	v_mov_b32_e32 v3, 0
	v_mov_b32_e32 v2, 0
	s_and_saveexec_b64 s[48:49], s[18:19]
	s_cbranch_execz .LBB2_672
; %bb.667:                              ;   in Loop: Header=BB2_475 Depth=2
	v_cmp_ne_u16_sdwa vcc, v4, s63 src0_sel:BYTE_0 src1_sel:DWORD
	v_bfrev_b32_e32 v2, 1
	s_and_saveexec_b64 s[18:19], vcc
	s_cbranch_execz .LBB2_671
; %bb.668:                              ;   in Loop: Header=BB2_475 Depth=2
	v_and_b32_e32 v10, 0x7f, v4
	v_cmp_ne_u32_e32 vcc, s64, v10
	v_mov_b32_e32 v2, 0x7f800001
	s_and_saveexec_b64 s[50:51], vcc
	s_cbranch_execz .LBB2_670
; %bb.669:                              ;   in Loop: Header=BB2_475 Depth=2
	v_and_b32_e32 v2, 7, v4
	v_ffbh_u32_e32 v2, v2
	v_min_u32_e32 v2, 32, v2
	v_subrev_u32_e32 v31, 28, v2
	v_cmp_gt_u32_e32 vcc, 8, v10
	v_lshrrev_b32_e32 v24, 3, v10
	v_cndmask_b32_e32 v10, 0, v31, vcc
	v_sub_u32_e32 v2, 29, v2
	v_lshlrev_b64 v[32:33], v10, v[4:5]
	v_cndmask_b32_e32 v2, v24, v2, vcc
	v_lshlrev_b32_e32 v5, 20, v32
	v_lshlrev_b32_e32 v10, 24, v4
	v_and_b32_e32 v5, 0x700000, v5
	v_and_b32_e32 v10, 0x80000000, v10
	v_lshl_add_u32 v2, v2, 23, v46
	v_or3_b32 v2, v10, v2, v5
.LBB2_670:                              ;   in Loop: Header=BB2_475 Depth=2
	s_or_b64 exec, exec, s[50:51]
.LBB2_671:                              ;   in Loop: Header=BB2_475 Depth=2
	s_or_b64 exec, exec, s[18:19]
.LBB2_672:                              ;   in Loop: Header=BB2_475 Depth=2
	s_or_b64 exec, exec, s[48:49]
	v_cmp_ne_u16_sdwa vcc, v22, v23 src0_sel:BYTE_0 src1_sel:DWORD
	s_and_saveexec_b64 s[18:19], vcc
	s_cbranch_execz .LBB2_678
; %bb.673:                              ;   in Loop: Header=BB2_475 Depth=2
	v_cmp_ne_u16_sdwa vcc, v22, s63 src0_sel:BYTE_0 src1_sel:DWORD
	v_bfrev_b32_e32 v3, 1
	s_and_saveexec_b64 s[48:49], vcc
	s_cbranch_execz .LBB2_677
; %bb.674:                              ;   in Loop: Header=BB2_475 Depth=2
	v_and_b32_e32 v5, 0x7f, v22
	v_cmp_ne_u32_e32 vcc, s64, v5
	v_mov_b32_e32 v3, 0x7f800001
	s_and_saveexec_b64 s[50:51], vcc
	s_cbranch_execz .LBB2_676
; %bb.675:                              ;   in Loop: Header=BB2_475 Depth=2
	v_and_b32_e32 v3, 7, v22
	v_ffbh_u32_e32 v3, v3
	v_min_u32_e32 v3, 32, v3
	v_subrev_u32_e32 v24, 28, v3
	v_cmp_gt_u32_e32 vcc, 8, v5
	v_lshrrev_b32_e32 v10, 3, v5
	v_cndmask_b32_e32 v5, 0, v24, vcc
	v_sub_u32_e32 v3, 29, v3
	v_lshlrev_b64 v[32:33], v5, v[22:23]
	v_cndmask_b32_e32 v3, v10, v3, vcc
	v_lshlrev_b32_e32 v5, 20, v32
	v_lshlrev_b32_e32 v10, 24, v22
	v_and_b32_e32 v5, 0x700000, v5
	v_and_b32_e32 v10, 0x80000000, v10
	v_lshl_add_u32 v3, v3, 23, v46
	v_or3_b32 v3, v10, v3, v5
.LBB2_676:                              ;   in Loop: Header=BB2_475 Depth=2
	s_or_b64 exec, exec, s[50:51]
.LBB2_677:                              ;   in Loop: Header=BB2_475 Depth=2
	s_or_b64 exec, exec, s[48:49]
.LBB2_678:                              ;   in Loop: Header=BB2_475 Depth=2
	s_or_b64 exec, exec, s[18:19]
	v_max_f32_e32 v3, v3, v3
	v_max_f32_e32 v2, v2, v2
	v_min_f32_e32 v10, v2, v3
.LBB2_679:                              ;   in Loop: Header=BB2_475 Depth=2
	s_or_b64 exec, exec, s[46:47]
	v_and_b32_sdwa v5, v10, s63 dst_sel:DWORD dst_unused:UNUSED_PAD src0_sel:BYTE_3 src1_sel:DWORD
	v_and_b32_e32 v32, 0x7f800000, v10
	v_mov_b32_e32 v33, v23
	v_and_b32_e32 v2, 0x7fffff, v10
	v_mov_b32_e32 v3, v23
	v_or_b32_e32 v24, 0x7e, v5
	v_cmp_ne_u64_e32 vcc, s[38:39], v[32:33]
	s_and_saveexec_b64 s[18:19], vcc
	s_xor_b64 s[46:47], exec, s[18:19]
	s_cbranch_execz .LBB2_689
; %bb.680:                              ;   in Loop: Header=BB2_475 Depth=2
	v_and_b32_e32 v32, 0x7fffffff, v10
	v_mov_b32_e32 v33, v23
	v_cmp_gt_u64_e32 vcc, s[40:41], v[32:33]
	s_and_saveexec_b64 s[48:49], vcc
	s_cbranch_execz .LBB2_688
; %bb.681:                              ;   in Loop: Header=BB2_475 Depth=2
	v_cmp_ne_u32_e32 vcc, 0, v10
	v_mov_b32_e32 v24, 0
	s_and_saveexec_b64 s[50:51], vcc
	s_cbranch_execz .LBB2_687
; %bb.682:                              ;   in Loop: Header=BB2_475 Depth=2
	v_bfe_u32 v10, v10, 23, 8
	v_sub_u32_e32 v31, 0x79, v10
	v_cmp_gt_u32_e32 vcc, s65, v10
	v_add_u32_e32 v24, 0xffffff81, v10
	v_cndmask_b32_e32 v31, 0, v31, vcc
	v_cmp_eq_u32_e32 vcc, 0, v10
	v_cndmask_b32_e32 v10, v24, v47, vcc
	v_cndmask_b32_e32 v24, v31, v30, vcc
	v_or_b32_e32 v32, 0x800000, v2
	v_add_u32_e32 v31, 20, v24
	v_cndmask_b32_e32 v2, v32, v2, vcc
	v_lshlrev_b64 v[32:33], v31, -1
	v_not_b32_e32 v31, v33
	v_not_b32_e32 v32, v32
	v_and_b32_e32 v33, 0, v31
	v_and_b32_e32 v32, v2, v32
	v_add_u32_e32 v31, 19, v24
	v_lshrrev_b64 v[2:3], v24, v[2:3]
	v_lshlrev_b64 v[48:49], v31, 1
	v_lshrrev_b32_e32 v31, 23, v2
	v_add3_u32 v31, v24, v10, v31
	v_bfe_u32 v10, v2, 20, 1
	v_add_u32_e32 v10, -1, v10
	v_cmp_eq_u64_e32 vcc, v[32:33], v[48:49]
	v_cndmask_b32_e32 v10, 0, v10, vcc
	v_add_u32_e32 v10, v10, v2
	v_and_b32_e32 v10, 0xfffff, v10
	v_add_co_u32_e32 v2, vcc, v10, v2
	v_add_u32_e32 v24, 6, v31
	v_addc_co_u32_e32 v3, vcc, 0, v3, vcc
	v_cmp_ne_u32_e32 vcc, 0, v24
                                        ; implicit-def: $vgpr10
	s_and_saveexec_b64 s[18:19], vcc
	s_xor_b64 s[18:19], exec, s[18:19]
; %bb.683:                              ;   in Loop: Header=BB2_475 Depth=2
	v_add_u32_e32 v10, 7, v31
	v_cmp_lt_u64_e32 vcc, s[42:43], v[2:3]
	v_cndmask_b32_e32 v10, v24, v10, vcc
	v_cndmask_b32_e64 v24, 0, 1, vcc
	v_lshrrev_b64 v[2:3], v24, v[2:3]
; %bb.684:                              ;   in Loop: Header=BB2_475 Depth=2
	s_andn2_saveexec_b64 s[18:19], s[18:19]
; %bb.685:                              ;   in Loop: Header=BB2_475 Depth=2
	v_bfe_u32 v10, v2, 23, 1
; %bb.686:                              ;   in Loop: Header=BB2_475 Depth=2
	s_or_b64 exec, exec, s[18:19]
	v_lshrrev_b64 v[2:3], 20, v[2:3]
	v_cmp_gt_i32_e32 vcc, 16, v10
	v_cndmask_b32_e32 v3, 0, v3, vcc
	v_cndmask_b32_e32 v2, 7, v2, vcc
	v_cmp_eq_u64_e64 s[18:19], 0, v[2:3]
	v_min_i32_e32 v3, 15, v10
	v_cmp_eq_u32_e32 vcc, 0, v10
	v_lshlrev_b32_e32 v3, 3, v3
	v_and_or_b32 v2, v2, 7, v3
	s_and_b64 s[18:19], vcc, s[18:19]
	v_cndmask_b32_e64 v2, v2, 0, s[18:19]
	v_or_b32_e32 v24, v2, v5
.LBB2_687:                              ;   in Loop: Header=BB2_475 Depth=2
	s_or_b64 exec, exec, s[50:51]
.LBB2_688:                              ;   in Loop: Header=BB2_475 Depth=2
	s_or_b64 exec, exec, s[48:49]
                                        ; implicit-def: $vgpr10
                                        ; implicit-def: $vgpr2_vgpr3
.LBB2_689:                              ;   in Loop: Header=BB2_475 Depth=2
	s_andn2_saveexec_b64 s[18:19], s[46:47]
; %bb.690:                              ;   in Loop: Header=BB2_475 Depth=2
	v_or_b32_sdwa v5, v10, s64 dst_sel:DWORD dst_unused:UNUSED_PAD src0_sel:BYTE_3 src1_sel:DWORD
	v_cmp_eq_u64_e32 vcc, 0, v[2:3]
	v_cndmask_b32_e32 v24, v5, v24, vcc
; %bb.691:                              ;   in Loop: Header=BB2_475 Depth=2
	s_or_b64 exec, exec, s[18:19]
	v_lshrrev_b16_e32 v10, 8, v4
	v_lshrrev_b16_e32 v2, 8, v22
	v_cmp_ne_u16_e32 vcc, 0, v10
                                        ; implicit-def: $vgpr32
	s_and_saveexec_b64 s[18:19], s[14:15]
	s_xor_b64 s[46:47], exec, s[18:19]
	s_cbranch_execz .LBB2_705
; %bb.692:                              ;   in Loop: Header=BB2_475 Depth=2
	v_mov_b32_e32 v5, 0
	v_mov_b32_e32 v3, 0
	s_and_saveexec_b64 s[48:49], vcc
	s_cbranch_execz .LBB2_698
; %bb.693:                              ;   in Loop: Header=BB2_475 Depth=2
	v_cmp_ne_u16_e64 s[18:19], s63, v10
	v_bfrev_b32_e32 v3, 1
	s_and_saveexec_b64 s[50:51], s[18:19]
	s_cbranch_execz .LBB2_697
; %bb.694:                              ;   in Loop: Header=BB2_475 Depth=2
	v_and_b32_e32 v31, 0x7f, v10
	v_cmp_ne_u32_e64 s[18:19], s64, v31
	v_mov_b32_e32 v3, 0x7f800001
	s_and_saveexec_b64 s[52:53], s[18:19]
	s_cbranch_execz .LBB2_696
; %bb.695:                              ;   in Loop: Header=BB2_475 Depth=2
	v_and_b32_e32 v3, 7, v10
	v_ffbh_u32_e32 v32, v3
	v_min_u32_e32 v37, 32, v32
	v_subrev_u32_e32 v32, 28, v37
	v_lshlrev_b64 v[32:33], v32, v[10:11]
	v_lshrrev_b32_e32 v36, 3, v31
	v_sub_u32_e32 v10, 29, v37
	v_and_b32_e32 v32, 7, v32
	v_cmp_gt_u32_e64 s[18:19], 8, v31
	v_cndmask_b32_e64 v10, v36, v10, s[18:19]
	v_cndmask_b32_e64 v3, v3, v32, s[18:19]
	v_lshlrev_b32_e32 v31, 16, v4
	v_lshlrev_b32_e32 v3, 20, v3
	v_and_b32_e32 v31, 0x80000000, v31
	v_lshl_add_u32 v10, v10, 23, v46
	v_or3_b32 v3, v31, v10, v3
.LBB2_696:                              ;   in Loop: Header=BB2_475 Depth=2
	s_or_b64 exec, exec, s[52:53]
.LBB2_697:                              ;   in Loop: Header=BB2_475 Depth=2
	s_or_b64 exec, exec, s[50:51]
.LBB2_698:                              ;   in Loop: Header=BB2_475 Depth=2
	s_or_b64 exec, exec, s[48:49]
	v_cmp_ne_u16_e64 s[18:19], 0, v2
	s_and_saveexec_b64 s[48:49], s[18:19]
	s_cbranch_execz .LBB2_704
; %bb.699:                              ;   in Loop: Header=BB2_475 Depth=2
	v_cmp_ne_u16_e64 s[18:19], s63, v2
	v_bfrev_b32_e32 v5, 1
	s_and_saveexec_b64 s[50:51], s[18:19]
	s_cbranch_execz .LBB2_703
; %bb.700:                              ;   in Loop: Header=BB2_475 Depth=2
	v_and_b32_e32 v10, 0x7f, v2
	v_cmp_ne_u32_e64 s[18:19], s64, v10
	v_mov_b32_e32 v5, 0x7f800001
	s_and_saveexec_b64 s[52:53], s[18:19]
	s_cbranch_execz .LBB2_702
; %bb.701:                              ;   in Loop: Header=BB2_475 Depth=2
	v_and_b32_e32 v5, 7, v2
	v_ffbh_u32_e32 v32, v5
	v_min_u32_e32 v36, 32, v32
	v_subrev_u32_e32 v32, 28, v36
	v_lshlrev_b64 v[32:33], v32, v[2:3]
	v_lshrrev_b32_e32 v31, 3, v10
	v_sub_u32_e32 v2, 29, v36
	v_and_b32_e32 v32, 7, v32
	v_cmp_gt_u32_e64 s[18:19], 8, v10
	v_cndmask_b32_e64 v2, v31, v2, s[18:19]
	v_cndmask_b32_e64 v5, v5, v32, s[18:19]
	v_lshlrev_b32_e32 v10, 16, v22
	v_lshlrev_b32_e32 v5, 20, v5
	v_and_b32_e32 v10, 0x80000000, v10
	v_lshl_add_u32 v2, v2, 23, v46
	v_or3_b32 v5, v10, v2, v5
.LBB2_702:                              ;   in Loop: Header=BB2_475 Depth=2
	s_or_b64 exec, exec, s[52:53]
.LBB2_703:                              ;   in Loop: Header=BB2_475 Depth=2
	s_or_b64 exec, exec, s[50:51]
.LBB2_704:                              ;   in Loop: Header=BB2_475 Depth=2
	s_or_b64 exec, exec, s[48:49]
	v_max_f32_e32 v2, v5, v5
	v_max_f32_e32 v3, v3, v3
	;; [unrolled: 1-line block ×3, first 2 shown]
                                        ; implicit-def: $vgpr2
                                        ; implicit-def: $vgpr10
.LBB2_705:                              ;   in Loop: Header=BB2_475 Depth=2
	s_andn2_saveexec_b64 s[18:19], s[46:47]
	s_cbranch_execz .LBB2_719
; %bb.706:                              ;   in Loop: Header=BB2_475 Depth=2
	v_mov_b32_e32 v5, 0
	v_mov_b32_e32 v3, 0
	s_and_saveexec_b64 s[46:47], vcc
	s_cbranch_execz .LBB2_712
; %bb.707:                              ;   in Loop: Header=BB2_475 Depth=2
	v_cmp_ne_u16_e32 vcc, s63, v10
	v_bfrev_b32_e32 v3, 1
	s_and_saveexec_b64 s[48:49], vcc
	s_cbranch_execz .LBB2_711
; %bb.708:                              ;   in Loop: Header=BB2_475 Depth=2
	v_and_b32_e32 v31, 0x7f, v10
	v_cmp_ne_u32_e32 vcc, s64, v31
	v_mov_b32_e32 v3, 0x7f800001
	s_and_saveexec_b64 s[50:51], vcc
	s_cbranch_execz .LBB2_710
; %bb.709:                              ;   in Loop: Header=BB2_475 Depth=2
	v_and_b32_e32 v3, 7, v10
	v_ffbh_u32_e32 v32, v3
	v_min_u32_e32 v37, 32, v32
	v_subrev_u32_e32 v32, 28, v37
	v_lshlrev_b64 v[32:33], v32, v[10:11]
	v_lshrrev_b32_e32 v36, 3, v31
	v_sub_u32_e32 v10, 29, v37
	v_and_b32_e32 v32, 7, v32
	v_cmp_gt_u32_e32 vcc, 8, v31
	v_cndmask_b32_e32 v10, v36, v10, vcc
	v_cndmask_b32_e32 v3, v3, v32, vcc
	v_lshlrev_b32_e32 v31, 16, v4
	v_lshlrev_b32_e32 v3, 20, v3
	v_and_b32_e32 v31, 0x80000000, v31
	v_lshl_add_u32 v10, v10, 23, v46
	v_or3_b32 v3, v31, v10, v3
.LBB2_710:                              ;   in Loop: Header=BB2_475 Depth=2
	s_or_b64 exec, exec, s[50:51]
.LBB2_711:                              ;   in Loop: Header=BB2_475 Depth=2
	s_or_b64 exec, exec, s[48:49]
.LBB2_712:                              ;   in Loop: Header=BB2_475 Depth=2
	s_or_b64 exec, exec, s[46:47]
	v_cmp_ne_u16_e32 vcc, 0, v2
	s_and_saveexec_b64 s[46:47], vcc
	s_cbranch_execz .LBB2_718
; %bb.713:                              ;   in Loop: Header=BB2_475 Depth=2
	v_cmp_ne_u16_e32 vcc, s63, v2
	v_bfrev_b32_e32 v5, 1
	s_and_saveexec_b64 s[48:49], vcc
	s_cbranch_execz .LBB2_717
; %bb.714:                              ;   in Loop: Header=BB2_475 Depth=2
	v_and_b32_e32 v10, 0x7f, v2
	v_cmp_ne_u32_e32 vcc, s64, v10
	v_mov_b32_e32 v5, 0x7f800001
	s_and_saveexec_b64 s[50:51], vcc
	s_cbranch_execz .LBB2_716
; %bb.715:                              ;   in Loop: Header=BB2_475 Depth=2
	v_and_b32_e32 v5, 7, v2
	v_ffbh_u32_e32 v32, v5
	v_min_u32_e32 v36, 32, v32
	v_subrev_u32_e32 v32, 28, v36
	v_lshlrev_b64 v[32:33], v32, v[2:3]
	v_lshrrev_b32_e32 v31, 3, v10
	v_sub_u32_e32 v2, 29, v36
	v_and_b32_e32 v32, 7, v32
	v_cmp_gt_u32_e32 vcc, 8, v10
	v_cndmask_b32_e32 v2, v31, v2, vcc
	v_cndmask_b32_e32 v5, v5, v32, vcc
	v_lshlrev_b32_e32 v10, 16, v22
	v_lshlrev_b32_e32 v5, 20, v5
	v_and_b32_e32 v10, 0x80000000, v10
	v_lshl_add_u32 v2, v2, 23, v46
	v_or3_b32 v5, v10, v2, v5
.LBB2_716:                              ;   in Loop: Header=BB2_475 Depth=2
	s_or_b64 exec, exec, s[50:51]
.LBB2_717:                              ;   in Loop: Header=BB2_475 Depth=2
	s_or_b64 exec, exec, s[48:49]
.LBB2_718:                              ;   in Loop: Header=BB2_475 Depth=2
	s_or_b64 exec, exec, s[46:47]
	v_max_f32_e32 v2, v5, v5
	v_max_f32_e32 v3, v3, v3
	v_min_f32_e32 v32, v3, v2
.LBB2_719:                              ;   in Loop: Header=BB2_475 Depth=2
	s_or_b64 exec, exec, s[18:19]
	v_and_b32_sdwa v5, v32, s63 dst_sel:DWORD dst_unused:UNUSED_PAD src0_sel:BYTE_3 src1_sel:DWORD
	v_and_b32_e32 v48, 0x7f800000, v32
	v_mov_b32_e32 v49, v23
	v_and_b32_e32 v2, 0x7fffff, v32
	v_mov_b32_e32 v3, v23
	v_or_b32_e32 v31, 0x7e, v5
	v_cmp_ne_u64_e32 vcc, s[38:39], v[48:49]
	s_and_saveexec_b64 s[18:19], vcc
	s_xor_b64 s[46:47], exec, s[18:19]
	s_cbranch_execz .LBB2_729
; %bb.720:                              ;   in Loop: Header=BB2_475 Depth=2
	v_and_b32_e32 v48, 0x7fffffff, v32
	v_mov_b32_e32 v49, v23
	v_cmp_gt_u64_e32 vcc, s[40:41], v[48:49]
	s_and_saveexec_b64 s[48:49], vcc
	s_cbranch_execz .LBB2_728
; %bb.721:                              ;   in Loop: Header=BB2_475 Depth=2
	v_cmp_ne_u32_e32 vcc, 0, v32
	v_mov_b32_e32 v31, 0
	s_and_saveexec_b64 s[50:51], vcc
	s_cbranch_execz .LBB2_727
; %bb.722:                              ;   in Loop: Header=BB2_475 Depth=2
	v_bfe_u32 v10, v32, 23, 8
	v_sub_u32_e32 v32, 0x79, v10
	v_cmp_gt_u32_e32 vcc, s65, v10
	v_add_u32_e32 v31, 0xffffff81, v10
	v_cndmask_b32_e32 v32, 0, v32, vcc
	v_cmp_eq_u32_e32 vcc, 0, v10
	v_cndmask_b32_e32 v10, v31, v47, vcc
	v_cndmask_b32_e32 v31, v32, v30, vcc
	v_or_b32_e32 v33, 0x800000, v2
	v_add_u32_e32 v32, 20, v31
	v_cndmask_b32_e32 v2, v33, v2, vcc
	v_lshlrev_b64 v[32:33], v32, -1
	v_not_b32_e32 v32, v32
	v_and_b32_e32 v48, v2, v32
	v_add_u32_e32 v32, 19, v31
	v_lshrrev_b64 v[2:3], v31, v[2:3]
	v_not_b32_e32 v33, v33
	v_lshlrev_b64 v[54:55], v32, 1
	v_lshrrev_b32_e32 v32, 23, v2
	v_and_b32_e32 v49, 0, v33
	v_add3_u32 v32, v31, v10, v32
	v_bfe_u32 v10, v2, 20, 1
	v_add_u32_e32 v10, -1, v10
	v_cmp_eq_u64_e32 vcc, v[48:49], v[54:55]
	v_cndmask_b32_e32 v10, 0, v10, vcc
	v_add_u32_e32 v10, v10, v2
	v_and_b32_e32 v10, 0xfffff, v10
	v_add_co_u32_e32 v2, vcc, v10, v2
	v_add_u32_e32 v31, 6, v32
	v_addc_co_u32_e32 v3, vcc, 0, v3, vcc
	v_cmp_ne_u32_e32 vcc, 0, v31
                                        ; implicit-def: $vgpr10
	s_and_saveexec_b64 s[18:19], vcc
	s_xor_b64 s[18:19], exec, s[18:19]
; %bb.723:                              ;   in Loop: Header=BB2_475 Depth=2
	v_add_u32_e32 v10, 7, v32
	v_cmp_lt_u64_e32 vcc, s[42:43], v[2:3]
	v_cndmask_b32_e32 v10, v31, v10, vcc
	v_cndmask_b32_e64 v31, 0, 1, vcc
	v_lshrrev_b64 v[2:3], v31, v[2:3]
; %bb.724:                              ;   in Loop: Header=BB2_475 Depth=2
	s_andn2_saveexec_b64 s[18:19], s[18:19]
; %bb.725:                              ;   in Loop: Header=BB2_475 Depth=2
	v_bfe_u32 v10, v2, 23, 1
; %bb.726:                              ;   in Loop: Header=BB2_475 Depth=2
	s_or_b64 exec, exec, s[18:19]
	v_lshrrev_b64 v[2:3], 20, v[2:3]
	v_cmp_gt_i32_e32 vcc, 16, v10
	v_cndmask_b32_e32 v3, 0, v3, vcc
	v_cndmask_b32_e32 v2, 7, v2, vcc
	v_cmp_eq_u64_e64 s[18:19], 0, v[2:3]
	v_min_i32_e32 v3, 15, v10
	v_cmp_eq_u32_e32 vcc, 0, v10
	v_lshlrev_b32_e32 v3, 3, v3
	v_and_or_b32 v2, v2, 7, v3
	s_and_b64 s[18:19], vcc, s[18:19]
	v_cndmask_b32_e64 v2, v2, 0, s[18:19]
	v_accvgpr_read_b32 v55, a9
	v_or_b32_e32 v31, v2, v5
	v_accvgpr_read_b32 v54, a8
.LBB2_727:                              ;   in Loop: Header=BB2_475 Depth=2
	s_or_b64 exec, exec, s[50:51]
.LBB2_728:                              ;   in Loop: Header=BB2_475 Depth=2
	s_or_b64 exec, exec, s[48:49]
                                        ; implicit-def: $vgpr32
                                        ; implicit-def: $vgpr2_vgpr3
.LBB2_729:                              ;   in Loop: Header=BB2_475 Depth=2
	s_andn2_saveexec_b64 s[18:19], s[46:47]
; %bb.730:                              ;   in Loop: Header=BB2_475 Depth=2
	v_or_b32_sdwa v5, v32, s64 dst_sel:DWORD dst_unused:UNUSED_PAD src0_sel:BYTE_3 src1_sel:DWORD
	v_cmp_eq_u64_e32 vcc, 0, v[2:3]
	v_cndmask_b32_e32 v31, v5, v31, vcc
; %bb.731:                              ;   in Loop: Header=BB2_475 Depth=2
	s_or_b64 exec, exec, s[18:19]
	v_lshrrev_b32_e32 v10, 16, v4
	v_lshrrev_b32_e32 v2, 16, v22
	v_cmp_ne_u16_sdwa s[18:19], v10, v23 src0_sel:BYTE_0 src1_sel:DWORD
                                        ; implicit-def: $vgpr33
	s_and_saveexec_b64 vcc, s[14:15]
	s_xor_b64 s[46:47], exec, vcc
	s_cbranch_execz .LBB2_745
; %bb.732:                              ;   in Loop: Header=BB2_475 Depth=2
	v_mov_b32_e32 v5, 0
	v_mov_b32_e32 v3, 0
	s_and_saveexec_b64 s[48:49], s[18:19]
	s_cbranch_execz .LBB2_738
; %bb.733:                              ;   in Loop: Header=BB2_475 Depth=2
	v_cmp_ne_u16_sdwa vcc, v10, s63 src0_sel:BYTE_0 src1_sel:DWORD
	v_bfrev_b32_e32 v3, 1
	s_and_saveexec_b64 s[50:51], vcc
	s_cbranch_execz .LBB2_737
; %bb.734:                              ;   in Loop: Header=BB2_475 Depth=2
	v_bfe_u32 v32, v4, 16, 7
	v_cmp_ne_u32_e32 vcc, s64, v32
	v_mov_b32_e32 v3, 0x7f800001
	s_and_saveexec_b64 s[52:53], vcc
	s_cbranch_execz .LBB2_736
; %bb.735:                              ;   in Loop: Header=BB2_475 Depth=2
	v_and_b32_e32 v3, 7, v10
	v_ffbh_u32_e32 v36, v3
	v_min_u32_e32 v36, 32, v36
	v_subrev_u32_e32 v37, 28, v36
	v_lshlrev_b64 v[48:49], v37, v[10:11]
	v_lshrrev_b32_e32 v33, 3, v32
	v_sub_u32_e32 v36, 29, v36
	v_and_b32_e32 v37, 7, v48
	v_cmp_gt_u32_e32 vcc, 8, v32
	v_cndmask_b32_e32 v32, v33, v36, vcc
	v_cndmask_b32_e32 v3, v3, v37, vcc
	v_lshlrev_b32_e32 v10, 24, v10
	v_lshlrev_b32_e32 v3, 20, v3
	v_and_b32_e32 v10, 0x80000000, v10
	v_lshl_add_u32 v32, v32, 23, v46
	v_or3_b32 v3, v10, v32, v3
.LBB2_736:                              ;   in Loop: Header=BB2_475 Depth=2
	s_or_b64 exec, exec, s[52:53]
.LBB2_737:                              ;   in Loop: Header=BB2_475 Depth=2
	s_or_b64 exec, exec, s[50:51]
.LBB2_738:                              ;   in Loop: Header=BB2_475 Depth=2
	s_or_b64 exec, exec, s[48:49]
	v_and_b32_sdwa v10, v22, s62 dst_sel:DWORD dst_unused:UNUSED_PAD src0_sel:WORD_1 src1_sel:DWORD
	v_cmp_ne_u16_e32 vcc, 0, v10
	s_and_saveexec_b64 s[48:49], vcc
	s_cbranch_execz .LBB2_744
; %bb.739:                              ;   in Loop: Header=BB2_475 Depth=2
	v_cmp_ne_u16_e32 vcc, s63, v10
	v_bfrev_b32_e32 v5, 1
	s_and_saveexec_b64 s[50:51], vcc
	s_cbranch_execz .LBB2_743
; %bb.740:                              ;   in Loop: Header=BB2_475 Depth=2
	v_bfe_u32 v10, v22, 16, 7
	v_cmp_ne_u32_e32 vcc, s64, v10
	v_mov_b32_e32 v5, 0x7f800001
	s_and_saveexec_b64 s[52:53], vcc
	s_cbranch_execz .LBB2_742
; %bb.741:                              ;   in Loop: Header=BB2_475 Depth=2
	v_and_b32_e32 v5, 7, v2
	v_ffbh_u32_e32 v32, v5
	v_min_u32_e32 v37, 32, v32
	v_subrev_u32_e32 v32, 28, v37
	v_lshlrev_b64 v[32:33], v32, v[2:3]
	v_lshrrev_b32_e32 v36, 3, v10
	v_sub_u32_e32 v2, 29, v37
	v_and_b32_e32 v32, 7, v32
	v_cmp_gt_u32_e32 vcc, 8, v10
	v_cndmask_b32_e32 v2, v36, v2, vcc
	v_cndmask_b32_e32 v5, v5, v32, vcc
	v_lshlrev_b32_sdwa v10, v6, v22 dst_sel:DWORD dst_unused:UNUSED_PAD src0_sel:DWORD src1_sel:WORD_1
	v_lshlrev_b32_e32 v5, 20, v5
	v_and_b32_e32 v10, 0x80000000, v10
	v_lshl_add_u32 v2, v2, 23, v46
	v_or3_b32 v5, v10, v2, v5
.LBB2_742:                              ;   in Loop: Header=BB2_475 Depth=2
	s_or_b64 exec, exec, s[52:53]
.LBB2_743:                              ;   in Loop: Header=BB2_475 Depth=2
	s_or_b64 exec, exec, s[50:51]
.LBB2_744:                              ;   in Loop: Header=BB2_475 Depth=2
	s_or_b64 exec, exec, s[48:49]
	v_max_f32_e32 v2, v5, v5
	v_max_f32_e32 v3, v3, v3
	;; [unrolled: 1-line block ×3, first 2 shown]
                                        ; implicit-def: $vgpr10
                                        ; implicit-def: $vgpr2
.LBB2_745:                              ;   in Loop: Header=BB2_475 Depth=2
	s_andn2_saveexec_b64 s[46:47], s[46:47]
	s_cbranch_execz .LBB2_759
; %bb.746:                              ;   in Loop: Header=BB2_475 Depth=2
	v_mov_b32_e32 v5, 0
	v_mov_b32_e32 v3, 0
	s_and_saveexec_b64 s[48:49], s[18:19]
	s_cbranch_execz .LBB2_752
; %bb.747:                              ;   in Loop: Header=BB2_475 Depth=2
	v_cmp_ne_u16_sdwa vcc, v10, s63 src0_sel:BYTE_0 src1_sel:DWORD
	v_bfrev_b32_e32 v3, 1
	s_and_saveexec_b64 s[18:19], vcc
	s_cbranch_execz .LBB2_751
; %bb.748:                              ;   in Loop: Header=BB2_475 Depth=2
	v_bfe_u32 v32, v4, 16, 7
	v_cmp_ne_u32_e32 vcc, s64, v32
	v_mov_b32_e32 v3, 0x7f800001
	s_and_saveexec_b64 s[50:51], vcc
	s_cbranch_execz .LBB2_750
; %bb.749:                              ;   in Loop: Header=BB2_475 Depth=2
	v_and_b32_e32 v3, 7, v10
	v_ffbh_u32_e32 v36, v3
	v_min_u32_e32 v36, 32, v36
	v_subrev_u32_e32 v37, 28, v36
	v_lshlrev_b64 v[48:49], v37, v[10:11]
	v_lshrrev_b32_e32 v33, 3, v32
	v_sub_u32_e32 v36, 29, v36
	v_and_b32_e32 v37, 7, v48
	v_cmp_gt_u32_e32 vcc, 8, v32
	v_cndmask_b32_e32 v32, v33, v36, vcc
	v_cndmask_b32_e32 v3, v3, v37, vcc
	v_lshlrev_b32_e32 v10, 24, v10
	v_lshlrev_b32_e32 v3, 20, v3
	v_and_b32_e32 v10, 0x80000000, v10
	v_lshl_add_u32 v32, v32, 23, v46
	v_or3_b32 v3, v10, v32, v3
.LBB2_750:                              ;   in Loop: Header=BB2_475 Depth=2
	s_or_b64 exec, exec, s[50:51]
.LBB2_751:                              ;   in Loop: Header=BB2_475 Depth=2
	s_or_b64 exec, exec, s[18:19]
.LBB2_752:                              ;   in Loop: Header=BB2_475 Depth=2
	s_or_b64 exec, exec, s[48:49]
	v_and_b32_sdwa v10, v22, s62 dst_sel:DWORD dst_unused:UNUSED_PAD src0_sel:WORD_1 src1_sel:DWORD
	v_cmp_ne_u16_e32 vcc, 0, v10
	s_and_saveexec_b64 s[18:19], vcc
	s_cbranch_execz .LBB2_758
; %bb.753:                              ;   in Loop: Header=BB2_475 Depth=2
	v_cmp_ne_u16_e32 vcc, s63, v10
	v_bfrev_b32_e32 v5, 1
	s_and_saveexec_b64 s[48:49], vcc
	s_cbranch_execz .LBB2_757
; %bb.754:                              ;   in Loop: Header=BB2_475 Depth=2
	v_bfe_u32 v10, v22, 16, 7
	v_cmp_ne_u32_e32 vcc, s64, v10
	v_mov_b32_e32 v5, 0x7f800001
	s_and_saveexec_b64 s[50:51], vcc
	s_cbranch_execz .LBB2_756
; %bb.755:                              ;   in Loop: Header=BB2_475 Depth=2
	v_and_b32_e32 v5, 7, v2
	v_ffbh_u32_e32 v32, v5
	v_min_u32_e32 v37, 32, v32
	v_subrev_u32_e32 v32, 28, v37
	v_lshlrev_b64 v[32:33], v32, v[2:3]
	v_lshrrev_b32_e32 v36, 3, v10
	v_sub_u32_e32 v2, 29, v37
	v_and_b32_e32 v32, 7, v32
	v_cmp_gt_u32_e32 vcc, 8, v10
	v_cndmask_b32_e32 v2, v36, v2, vcc
	v_cndmask_b32_e32 v5, v5, v32, vcc
	v_lshlrev_b32_sdwa v10, v6, v22 dst_sel:DWORD dst_unused:UNUSED_PAD src0_sel:DWORD src1_sel:WORD_1
	v_lshlrev_b32_e32 v5, 20, v5
	v_and_b32_e32 v10, 0x80000000, v10
	v_lshl_add_u32 v2, v2, 23, v46
	v_or3_b32 v5, v10, v2, v5
.LBB2_756:                              ;   in Loop: Header=BB2_475 Depth=2
	s_or_b64 exec, exec, s[50:51]
.LBB2_757:                              ;   in Loop: Header=BB2_475 Depth=2
	s_or_b64 exec, exec, s[48:49]
.LBB2_758:                              ;   in Loop: Header=BB2_475 Depth=2
	s_or_b64 exec, exec, s[18:19]
	v_max_f32_e32 v2, v5, v5
	v_max_f32_e32 v3, v3, v3
	v_min_f32_e32 v33, v3, v2
.LBB2_759:                              ;   in Loop: Header=BB2_475 Depth=2
	s_or_b64 exec, exec, s[46:47]
	v_and_b32_sdwa v5, v33, s63 dst_sel:DWORD dst_unused:UNUSED_PAD src0_sel:BYTE_3 src1_sel:DWORD
	v_and_b32_e32 v48, 0x7f800000, v33
	v_mov_b32_e32 v49, v23
	v_and_b32_e32 v2, 0x7fffff, v33
	v_mov_b32_e32 v3, v23
	v_or_b32_e32 v32, 0x7e, v5
	v_cmp_ne_u64_e32 vcc, s[38:39], v[48:49]
	s_and_saveexec_b64 s[18:19], vcc
	s_xor_b64 s[46:47], exec, s[18:19]
	s_cbranch_execz .LBB2_769
; %bb.760:                              ;   in Loop: Header=BB2_475 Depth=2
	v_and_b32_e32 v48, 0x7fffffff, v33
	v_mov_b32_e32 v49, v23
	v_cmp_gt_u64_e32 vcc, s[40:41], v[48:49]
	s_and_saveexec_b64 s[48:49], vcc
	s_cbranch_execz .LBB2_768
; %bb.761:                              ;   in Loop: Header=BB2_475 Depth=2
	v_cmp_ne_u32_e32 vcc, 0, v33
	v_mov_b32_e32 v32, 0
	s_and_saveexec_b64 s[50:51], vcc
	s_cbranch_execz .LBB2_767
; %bb.762:                              ;   in Loop: Header=BB2_475 Depth=2
	v_bfe_u32 v10, v33, 23, 8
	v_sub_u32_e32 v33, 0x79, v10
	v_cmp_gt_u32_e32 vcc, s65, v10
	v_cndmask_b32_e32 v33, 0, v33, vcc
	v_cmp_eq_u32_e32 vcc, 0, v10
	v_add_u32_e32 v32, 0xffffff81, v10
	v_cndmask_b32_e32 v37, v33, v30, vcc
	v_cndmask_b32_e32 v10, v32, v47, vcc
	v_add_u32_e32 v32, 20, v37
	v_or_b32_e32 v36, 0x800000, v2
	v_lshlrev_b64 v[32:33], v32, -1
	v_cndmask_b32_e32 v2, v36, v2, vcc
	v_not_b32_e32 v32, v32
	v_and_b32_e32 v48, v2, v32
	v_add_u32_e32 v32, 19, v37
	v_lshrrev_b64 v[2:3], v37, v[2:3]
	v_not_b32_e32 v33, v33
	v_lshlrev_b64 v[54:55], v32, 1
	v_lshrrev_b32_e32 v32, 23, v2
	v_and_b32_e32 v49, 0, v33
	v_add3_u32 v33, v37, v10, v32
	v_bfe_u32 v10, v2, 20, 1
	v_add_u32_e32 v10, -1, v10
	v_cmp_eq_u64_e32 vcc, v[48:49], v[54:55]
	v_cndmask_b32_e32 v10, 0, v10, vcc
	v_add_u32_e32 v10, v10, v2
	v_and_b32_e32 v10, 0xfffff, v10
	v_add_co_u32_e32 v2, vcc, v10, v2
	v_add_u32_e32 v32, 6, v33
	v_addc_co_u32_e32 v3, vcc, 0, v3, vcc
	v_cmp_ne_u32_e32 vcc, 0, v32
                                        ; implicit-def: $vgpr10
	s_and_saveexec_b64 s[18:19], vcc
	s_xor_b64 s[18:19], exec, s[18:19]
; %bb.763:                              ;   in Loop: Header=BB2_475 Depth=2
	v_add_u32_e32 v10, 7, v33
	v_cmp_lt_u64_e32 vcc, s[42:43], v[2:3]
	v_cndmask_b32_e32 v10, v32, v10, vcc
	v_cndmask_b32_e64 v32, 0, 1, vcc
	v_lshrrev_b64 v[2:3], v32, v[2:3]
; %bb.764:                              ;   in Loop: Header=BB2_475 Depth=2
	s_andn2_saveexec_b64 s[18:19], s[18:19]
; %bb.765:                              ;   in Loop: Header=BB2_475 Depth=2
	v_bfe_u32 v10, v2, 23, 1
; %bb.766:                              ;   in Loop: Header=BB2_475 Depth=2
	s_or_b64 exec, exec, s[18:19]
	v_lshrrev_b64 v[2:3], 20, v[2:3]
	v_cmp_gt_i32_e32 vcc, 16, v10
	v_cndmask_b32_e32 v3, 0, v3, vcc
	v_cndmask_b32_e32 v2, 7, v2, vcc
	v_cmp_eq_u64_e64 s[18:19], 0, v[2:3]
	v_min_i32_e32 v3, 15, v10
	v_lshlrev_b32_e32 v3, 3, v3
	v_cmp_eq_u32_e32 vcc, 0, v10
	v_and_b32_e32 v3, 0xf8, v3
	v_and_or_b32 v2, v2, 7, v3
	s_and_b64 s[18:19], vcc, s[18:19]
	v_cndmask_b32_e64 v2, v2, 0, s[18:19]
	v_accvgpr_read_b32 v55, a9
	v_or_b32_e32 v32, v2, v5
	v_accvgpr_read_b32 v54, a8
.LBB2_767:                              ;   in Loop: Header=BB2_475 Depth=2
	s_or_b64 exec, exec, s[50:51]
.LBB2_768:                              ;   in Loop: Header=BB2_475 Depth=2
	s_or_b64 exec, exec, s[48:49]
                                        ; implicit-def: $vgpr33
                                        ; implicit-def: $vgpr2_vgpr3
.LBB2_769:                              ;   in Loop: Header=BB2_475 Depth=2
	s_andn2_saveexec_b64 s[18:19], s[46:47]
; %bb.770:                              ;   in Loop: Header=BB2_475 Depth=2
	v_or_b32_sdwa v5, v33, s64 dst_sel:DWORD dst_unused:UNUSED_PAD src0_sel:BYTE_3 src1_sel:DWORD
	v_cmp_eq_u64_e32 vcc, 0, v[2:3]
	v_cndmask_b32_e32 v32, v5, v32, vcc
; %bb.771:                              ;   in Loop: Header=BB2_475 Depth=2
	s_or_b64 exec, exec, s[18:19]
	v_and_b32_e32 v48, 0xff000000, v4
	v_mov_b32_e32 v49, v23
	v_lshrrev_b32_e32 v10, 24, v4
	v_lshrrev_b32_e32 v2, 24, v22
	v_cmp_ne_u64_e32 vcc, 0, v[48:49]
                                        ; implicit-def: $vgpr3
	s_and_saveexec_b64 s[18:19], s[14:15]
	s_xor_b64 s[46:47], exec, s[18:19]
	s_cbranch_execz .LBB2_785
; %bb.772:                              ;   in Loop: Header=BB2_475 Depth=2
	v_mov_b32_e32 v5, 0
	v_mov_b32_e32 v3, 0
	s_and_saveexec_b64 s[48:49], vcc
	s_cbranch_execz .LBB2_778
; %bb.773:                              ;   in Loop: Header=BB2_475 Depth=2
	v_cmp_ne_u32_e64 s[18:19], s63, v10
	v_bfrev_b32_e32 v3, 1
	s_and_saveexec_b64 s[50:51], s[18:19]
	s_cbranch_execz .LBB2_777
; %bb.774:                              ;   in Loop: Header=BB2_475 Depth=2
	v_bfe_u32 v4, v4, 24, 7
	v_cmp_ne_u32_e64 s[18:19], s64, v4
	v_mov_b32_e32 v3, 0x7f800001
	s_and_saveexec_b64 s[52:53], s[18:19]
	s_cbranch_execz .LBB2_776
; %bb.775:                              ;   in Loop: Header=BB2_475 Depth=2
	v_and_b32_e32 v3, 7, v10
	v_ffbh_u32_e32 v36, v3
	v_min_u32_e32 v36, 32, v36
	v_subrev_u32_e32 v37, 28, v36
	v_lshlrev_b64 v[48:49], v37, v[10:11]
	v_lshrrev_b32_e32 v33, 3, v4
	v_sub_u32_e32 v36, 29, v36
	v_and_b32_e32 v37, 7, v48
	v_cmp_gt_u32_e64 s[18:19], 8, v4
	v_cndmask_b32_e64 v4, v33, v36, s[18:19]
	v_cndmask_b32_e64 v3, v3, v37, s[18:19]
	v_lshlrev_b32_e32 v10, 24, v10
	v_lshlrev_b32_e32 v3, 20, v3
	v_and_b32_e32 v10, 0x80000000, v10
	v_lshl_add_u32 v4, v4, 23, v46
	v_or3_b32 v3, v10, v4, v3
.LBB2_776:                              ;   in Loop: Header=BB2_475 Depth=2
	s_or_b64 exec, exec, s[52:53]
.LBB2_777:                              ;   in Loop: Header=BB2_475 Depth=2
	s_or_b64 exec, exec, s[50:51]
.LBB2_778:                              ;   in Loop: Header=BB2_475 Depth=2
	s_or_b64 exec, exec, s[48:49]
	v_cmp_lt_u32_e64 s[18:19], s66, v22
	s_and_saveexec_b64 s[48:49], s[18:19]
	s_cbranch_execz .LBB2_784
; %bb.779:                              ;   in Loop: Header=BB2_475 Depth=2
	v_cmp_ne_u32_sdwa s[18:19], v22, s63 src0_sel:BYTE_3 src1_sel:DWORD
	v_bfrev_b32_e32 v5, 1
	s_and_saveexec_b64 s[50:51], s[18:19]
	s_cbranch_execz .LBB2_783
; %bb.780:                              ;   in Loop: Header=BB2_475 Depth=2
	v_bfe_u32 v4, v22, 24, 7
	v_cmp_ne_u32_e64 s[18:19], s64, v4
	v_mov_b32_e32 v5, 0x7f800001
	s_and_saveexec_b64 s[52:53], s[18:19]
	s_cbranch_execz .LBB2_782
; %bb.781:                              ;   in Loop: Header=BB2_475 Depth=2
	v_and_b32_e32 v5, 7, v2
	v_ffbh_u32_e32 v33, v5
	v_min_u32_e32 v33, 32, v33
	v_subrev_u32_e32 v36, 28, v33
	v_lshlrev_b64 v[48:49], v36, v[2:3]
	v_lshrrev_b32_e32 v10, 3, v4
	v_sub_u32_e32 v2, 29, v33
	v_and_b32_e32 v33, 7, v48
	v_cmp_gt_u32_e64 s[18:19], 8, v4
	v_cndmask_b32_e64 v2, v10, v2, s[18:19]
	v_cndmask_b32_e64 v4, v5, v33, s[18:19]
	v_lshlrev_b32_sdwa v5, v6, v22 dst_sel:DWORD dst_unused:UNUSED_PAD src0_sel:DWORD src1_sel:BYTE_3
	v_lshlrev_b32_e32 v4, 20, v4
	v_and_b32_e32 v5, 0x80000000, v5
	v_lshl_add_u32 v2, v2, 23, v46
	v_or3_b32 v5, v5, v2, v4
.LBB2_782:                              ;   in Loop: Header=BB2_475 Depth=2
	s_or_b64 exec, exec, s[52:53]
.LBB2_783:                              ;   in Loop: Header=BB2_475 Depth=2
	s_or_b64 exec, exec, s[50:51]
.LBB2_784:                              ;   in Loop: Header=BB2_475 Depth=2
	s_or_b64 exec, exec, s[48:49]
	v_max_f32_e32 v2, v5, v5
	v_max_f32_e32 v3, v3, v3
	v_max_f32_e32 v3, v3, v2
                                        ; implicit-def: $vgpr10
                                        ; implicit-def: $vgpr2
                                        ; implicit-def: $vgpr4_vgpr5
.LBB2_785:                              ;   in Loop: Header=BB2_475 Depth=2
	s_andn2_saveexec_b64 s[18:19], s[46:47]
	s_cbranch_execz .LBB2_799
; %bb.786:                              ;   in Loop: Header=BB2_475 Depth=2
	v_mov_b32_e32 v5, 0
	v_mov_b32_e32 v3, 0
	s_and_saveexec_b64 s[46:47], vcc
	s_cbranch_execz .LBB2_792
; %bb.787:                              ;   in Loop: Header=BB2_475 Depth=2
	v_cmp_ne_u32_e32 vcc, s63, v10
	v_bfrev_b32_e32 v3, 1
	s_and_saveexec_b64 s[48:49], vcc
	s_cbranch_execz .LBB2_791
; %bb.788:                              ;   in Loop: Header=BB2_475 Depth=2
	v_bfe_u32 v4, v4, 24, 7
	v_cmp_ne_u32_e32 vcc, s64, v4
	v_mov_b32_e32 v3, 0x7f800001
	s_and_saveexec_b64 s[50:51], vcc
	s_cbranch_execz .LBB2_790
; %bb.789:                              ;   in Loop: Header=BB2_475 Depth=2
	v_and_b32_e32 v3, 7, v10
	v_ffbh_u32_e32 v36, v3
	v_min_u32_e32 v36, 32, v36
	v_subrev_u32_e32 v37, 28, v36
	v_lshlrev_b64 v[48:49], v37, v[10:11]
	v_lshrrev_b32_e32 v33, 3, v4
	v_sub_u32_e32 v36, 29, v36
	v_and_b32_e32 v37, 7, v48
	v_cmp_gt_u32_e32 vcc, 8, v4
	v_cndmask_b32_e32 v4, v33, v36, vcc
	v_cndmask_b32_e32 v3, v3, v37, vcc
	v_lshlrev_b32_e32 v10, 24, v10
	v_lshlrev_b32_e32 v3, 20, v3
	v_and_b32_e32 v10, 0x80000000, v10
	v_lshl_add_u32 v4, v4, 23, v46
	v_or3_b32 v3, v10, v4, v3
.LBB2_790:                              ;   in Loop: Header=BB2_475 Depth=2
	s_or_b64 exec, exec, s[50:51]
.LBB2_791:                              ;   in Loop: Header=BB2_475 Depth=2
	s_or_b64 exec, exec, s[48:49]
.LBB2_792:                              ;   in Loop: Header=BB2_475 Depth=2
	s_or_b64 exec, exec, s[46:47]
	v_cmp_lt_u32_e32 vcc, s66, v22
	s_and_saveexec_b64 s[46:47], vcc
	s_cbranch_execz .LBB2_798
; %bb.793:                              ;   in Loop: Header=BB2_475 Depth=2
	v_cmp_ne_u32_sdwa vcc, v22, s63 src0_sel:BYTE_3 src1_sel:DWORD
	v_bfrev_b32_e32 v5, 1
	s_and_saveexec_b64 s[48:49], vcc
	s_cbranch_execz .LBB2_797
; %bb.794:                              ;   in Loop: Header=BB2_475 Depth=2
	v_bfe_u32 v4, v22, 24, 7
	v_cmp_ne_u32_e32 vcc, s64, v4
	v_mov_b32_e32 v5, 0x7f800001
	s_and_saveexec_b64 s[50:51], vcc
	s_cbranch_execz .LBB2_796
; %bb.795:                              ;   in Loop: Header=BB2_475 Depth=2
	v_and_b32_e32 v5, 7, v2
	v_ffbh_u32_e32 v33, v5
	v_min_u32_e32 v33, 32, v33
	v_subrev_u32_e32 v36, 28, v33
	v_lshlrev_b64 v[48:49], v36, v[2:3]
	v_lshrrev_b32_e32 v10, 3, v4
	v_sub_u32_e32 v2, 29, v33
	v_and_b32_e32 v33, 7, v48
	v_cmp_gt_u32_e32 vcc, 8, v4
	v_cndmask_b32_e32 v2, v10, v2, vcc
	v_cndmask_b32_e32 v4, v5, v33, vcc
	v_lshlrev_b32_sdwa v5, v6, v22 dst_sel:DWORD dst_unused:UNUSED_PAD src0_sel:DWORD src1_sel:BYTE_3
	v_lshlrev_b32_e32 v4, 20, v4
	v_and_b32_e32 v5, 0x80000000, v5
	v_lshl_add_u32 v2, v2, 23, v46
	v_or3_b32 v5, v5, v2, v4
.LBB2_796:                              ;   in Loop: Header=BB2_475 Depth=2
	s_or_b64 exec, exec, s[50:51]
.LBB2_797:                              ;   in Loop: Header=BB2_475 Depth=2
	s_or_b64 exec, exec, s[48:49]
.LBB2_798:                              ;   in Loop: Header=BB2_475 Depth=2
	s_or_b64 exec, exec, s[46:47]
	v_max_f32_e32 v2, v5, v5
	v_max_f32_e32 v3, v3, v3
	v_min_f32_e32 v3, v3, v2
.LBB2_799:                              ;   in Loop: Header=BB2_475 Depth=2
	s_or_b64 exec, exec, s[18:19]
	v_and_b32_sdwa v4, v3, s63 dst_sel:DWORD dst_unused:UNUSED_PAD src0_sel:BYTE_3 src1_sel:DWORD
	v_and_b32_e32 v48, 0x7f800000, v3
	v_mov_b32_e32 v49, v23
	v_and_b32_e32 v22, 0x7fffff, v3
	v_or_b32_e32 v2, 0x7e, v4
	v_cmp_ne_u64_e32 vcc, s[38:39], v[48:49]
	s_and_saveexec_b64 s[18:19], vcc
	s_xor_b64 s[46:47], exec, s[18:19]
	s_cbranch_execz .LBB2_809
; %bb.800:                              ;   in Loop: Header=BB2_475 Depth=2
	v_and_b32_e32 v48, 0x7fffffff, v3
	v_mov_b32_e32 v49, v23
	v_cmp_gt_u64_e32 vcc, s[40:41], v[48:49]
	s_and_saveexec_b64 s[48:49], vcc
	s_cbranch_execz .LBB2_808
; %bb.801:                              ;   in Loop: Header=BB2_475 Depth=2
	v_cmp_ne_u32_e32 vcc, 0, v3
	v_mov_b32_e32 v2, 0
	s_and_saveexec_b64 s[50:51], vcc
	s_cbranch_execz .LBB2_807
; %bb.802:                              ;   in Loop: Header=BB2_475 Depth=2
	v_bfe_u32 v2, v3, 23, 8
	v_sub_u32_e32 v5, 0x79, v2
	v_cmp_gt_u32_e32 vcc, s65, v2
	v_cndmask_b32_e32 v5, 0, v5, vcc
	v_cmp_eq_u32_e32 vcc, 0, v2
	v_or_b32_e32 v10, 0x800000, v22
	v_cndmask_b32_e32 v5, v5, v30, vcc
	v_add_u32_e32 v3, 0xffffff81, v2
	v_cndmask_b32_e32 v22, v10, v22, vcc
	v_add_u32_e32 v2, 20, v5
	v_cndmask_b32_e32 v33, v3, v47, vcc
	v_lshlrev_b64 v[2:3], v2, -1
	v_add_u32_e32 v10, 19, v5
	v_lshrrev_b64 v[54:55], v5, v[22:23]
	v_not_b32_e32 v3, v3
	v_not_b32_e32 v2, v2
	v_lshlrev_b64 v[48:49], v10, 1
	v_lshrrev_b32_e32 v10, 23, v54
	v_and_b32_e32 v3, 0, v3
	v_and_b32_e32 v2, v22, v2
	v_add3_u32 v33, v5, v33, v10
	v_bfe_u32 v5, v54, 20, 1
	v_add_u32_e32 v5, -1, v5
	v_cmp_eq_u64_e32 vcc, v[2:3], v[48:49]
	v_cndmask_b32_e32 v2, 0, v5, vcc
	v_add_u32_e32 v2, v2, v54
	v_and_b32_e32 v2, 0xfffff, v2
	v_add_co_u32_e32 v2, vcc, v2, v54
	v_add_u32_e32 v10, 6, v33
	v_addc_co_u32_e32 v3, vcc, 0, v55, vcc
	v_cmp_ne_u32_e32 vcc, 0, v10
                                        ; implicit-def: $vgpr5
	s_and_saveexec_b64 s[18:19], vcc
	s_xor_b64 s[18:19], exec, s[18:19]
; %bb.803:                              ;   in Loop: Header=BB2_475 Depth=2
	v_add_u32_e32 v5, 7, v33
	v_cmp_lt_u64_e32 vcc, s[42:43], v[2:3]
	v_cndmask_b32_e32 v5, v10, v5, vcc
	v_cndmask_b32_e64 v10, 0, 1, vcc
	v_lshrrev_b64 v[2:3], v10, v[2:3]
; %bb.804:                              ;   in Loop: Header=BB2_475 Depth=2
	s_andn2_saveexec_b64 s[18:19], s[18:19]
; %bb.805:                              ;   in Loop: Header=BB2_475 Depth=2
	v_bfe_u32 v5, v2, 23, 1
; %bb.806:                              ;   in Loop: Header=BB2_475 Depth=2
	s_or_b64 exec, exec, s[18:19]
	v_lshrrev_b64 v[2:3], 20, v[2:3]
	v_cmp_gt_i32_e32 vcc, 16, v5
	v_cndmask_b32_e32 v3, 0, v3, vcc
	v_cndmask_b32_e32 v2, 7, v2, vcc
	v_cmp_eq_u64_e64 s[18:19], 0, v[2:3]
	v_min_i32_e32 v3, 15, v5
	v_lshlrev_b32_e32 v3, 3, v3
	v_cmp_eq_u32_e32 vcc, 0, v5
	v_and_b32_e32 v3, 0xf8, v3
	v_and_or_b32 v2, v2, 7, v3
	s_and_b64 s[18:19], vcc, s[18:19]
	v_cndmask_b32_e64 v2, v2, 0, s[18:19]
	v_accvgpr_read_b32 v55, a9
	v_or_b32_e32 v2, v2, v4
	v_accvgpr_read_b32 v54, a8
.LBB2_807:                              ;   in Loop: Header=BB2_475 Depth=2
	s_or_b64 exec, exec, s[50:51]
.LBB2_808:                              ;   in Loop: Header=BB2_475 Depth=2
	s_or_b64 exec, exec, s[48:49]
                                        ; implicit-def: $vgpr3
.LBB2_809:                              ;   in Loop: Header=BB2_475 Depth=2
	s_andn2_saveexec_b64 s[18:19], s[46:47]
; %bb.810:                              ;   in Loop: Header=BB2_475 Depth=2
	v_or_b32_sdwa v3, v3, s64 dst_sel:DWORD dst_unused:UNUSED_PAD src0_sel:BYTE_3 src1_sel:DWORD
	v_cmp_eq_u64_e32 vcc, 0, v[22:23]
	v_cndmask_b32_e32 v2, v3, v2, vcc
; %bb.811:                              ;   in Loop: Header=BB2_475 Depth=2
	s_or_b64 exec, exec, s[18:19]
	v_lshlrev_b32_e32 v3, 8, v31
	v_lshlrev_b32_e32 v2, 24, v2
	;; [unrolled: 1-line block ×3, first 2 shown]
	v_perm_b32 v3, v3, v24, s67
	v_cmp_lt_u32_e32 vcc, 7, v21
	v_or3_b32 v3, v2, v3, v4
	v_cndmask_b32_e64 v2, 0, 1, vcc
	;;#ASMSTART
	;;#ASMEND
	v_cmp_ne_u32_e64 s[18:19], 0, v2
	s_cmp_lg_u64 s[18:19], exec
	s_mov_b64 s[18:19], -1
	s_cbranch_scc0 .LBB2_821
; %bb.812:                              ;   in Loop: Header=BB2_475 Depth=2
	v_cmp_ne_u32_e64 s[18:19], 1, v21
	flat_store_byte v[0:1], v8
	s_and_saveexec_b64 s[46:47], s[18:19]
	s_cbranch_execnz .LBB2_823
; %bb.813:                              ;   in Loop: Header=BB2_475 Depth=2
	s_or_b64 exec, exec, s[46:47]
	v_cmp_lt_u32_e64 s[18:19], 2, v21
	s_and_saveexec_b64 s[46:47], s[18:19]
	s_cbranch_execnz .LBB2_824
.LBB2_814:                              ;   in Loop: Header=BB2_475 Depth=2
	s_or_b64 exec, exec, s[46:47]
	v_cmp_lt_u32_e64 s[18:19], 3, v21
	s_and_saveexec_b64 s[46:47], s[18:19]
	s_cbranch_execnz .LBB2_825
.LBB2_815:                              ;   in Loop: Header=BB2_475 Depth=2
	s_or_b64 exec, exec, s[46:47]
	v_cmp_lt_u32_e64 s[18:19], 4, v21
	s_and_saveexec_b64 s[46:47], s[18:19]
	s_cbranch_execnz .LBB2_826
.LBB2_816:                              ;   in Loop: Header=BB2_475 Depth=2
	s_or_b64 exec, exec, s[46:47]
	v_cmp_lt_u32_e64 s[18:19], 5, v21
	s_and_saveexec_b64 s[46:47], s[18:19]
	s_cbranch_execnz .LBB2_827
.LBB2_817:                              ;   in Loop: Header=BB2_475 Depth=2
	s_or_b64 exec, exec, s[46:47]
	v_cmp_lt_u32_e64 s[18:19], 6, v21
	s_and_saveexec_b64 s[46:47], s[18:19]
	s_cbranch_execnz .LBB2_828
.LBB2_818:                              ;   in Loop: Header=BB2_475 Depth=2
	s_or_b64 exec, exec, s[46:47]
	s_and_saveexec_b64 s[18:19], vcc
	s_cbranch_execz .LBB2_820
.LBB2_819:                              ;   in Loop: Header=BB2_475 Depth=2
	v_lshrrev_b32_e32 v2, 24, v3
	flat_store_byte v[0:1], v2 offset:7
.LBB2_820:                              ;   in Loop: Header=BB2_475 Depth=2
	s_or_b64 exec, exec, s[18:19]
	s_mov_b64 s[18:19], 0
.LBB2_821:                              ;   in Loop: Header=BB2_475 Depth=2
	s_and_b64 vcc, exec, s[18:19]
	s_cbranch_vccz .LBB2_474
; %bb.822:                              ;   in Loop: Header=BB2_475 Depth=2
	v_perm_b32 v4, v11, v27, s68
	v_lshlrev_b32_e32 v2, 8, v9
	v_perm_b32 v4, v4, v8, s69
	v_and_or_b32 v2, v2, s70, v4
	global_store_dwordx2 v[0:1], v[2:3], off
	s_branch .LBB2_474
.LBB2_823:                              ;   in Loop: Header=BB2_475 Depth=2
	flat_store_byte v[0:1], v9 offset:1
	s_or_b64 exec, exec, s[46:47]
	v_cmp_lt_u32_e64 s[18:19], 2, v21
	s_and_saveexec_b64 s[46:47], s[18:19]
	s_cbranch_execz .LBB2_814
.LBB2_824:                              ;   in Loop: Header=BB2_475 Depth=2
	flat_store_byte v[0:1], v27 offset:2
	s_or_b64 exec, exec, s[46:47]
	v_cmp_lt_u32_e64 s[18:19], 3, v21
	s_and_saveexec_b64 s[46:47], s[18:19]
	s_cbranch_execz .LBB2_815
.LBB2_825:                              ;   in Loop: Header=BB2_475 Depth=2
	flat_store_byte v[0:1], v11 offset:3
	s_or_b64 exec, exec, s[46:47]
	v_cmp_lt_u32_e64 s[18:19], 4, v21
	s_and_saveexec_b64 s[46:47], s[18:19]
	s_cbranch_execz .LBB2_816
.LBB2_826:                              ;   in Loop: Header=BB2_475 Depth=2
	flat_store_byte v[0:1], v24 offset:4
	s_or_b64 exec, exec, s[46:47]
	v_cmp_lt_u32_e64 s[18:19], 5, v21
	s_and_saveexec_b64 s[46:47], s[18:19]
	s_cbranch_execz .LBB2_817
.LBB2_827:                              ;   in Loop: Header=BB2_475 Depth=2
	flat_store_byte v[0:1], v31 offset:5
	s_or_b64 exec, exec, s[46:47]
	v_cmp_lt_u32_e64 s[18:19], 6, v21
	s_and_saveexec_b64 s[46:47], s[18:19]
	s_cbranch_execz .LBB2_818
.LBB2_828:                              ;   in Loop: Header=BB2_475 Depth=2
	flat_store_byte v[0:1], v32 offset:6
	s_or_b64 exec, exec, s[46:47]
	s_and_saveexec_b64 s[18:19], vcc
	s_cbranch_execnz .LBB2_819
	s_branch .LBB2_820
.LBB2_829:                              ;   in Loop: Header=BB2_21 Depth=1
	s_or_b64 exec, exec, s[44:45]
	v_accvgpr_read_b32 v8, a40
	v_accvgpr_read_b32 v9, a41
.LBB2_830:                              ;   in Loop: Header=BB2_21 Depth=1
	s_or_b64 exec, exec, s[20:21]
	v_accvgpr_read_b32 v27, a3
	v_accvgpr_read_b32 v26, a2
	;; [unrolled: 1-line block ×3, first 2 shown]
	s_and_saveexec_b64 s[18:19], s[10:11]
	s_cbranch_execz .LBB2_849
; %bb.831:                              ;   in Loop: Header=BB2_21 Depth=1
	s_and_saveexec_b64 s[20:21], s[30:31]
	s_xor_b64 s[20:21], exec, s[20:21]
	s_cbranch_execz .LBB2_846
; %bb.832:                              ;   in Loop: Header=BB2_21 Depth=1
	s_and_saveexec_b64 s[44:45], s[12:13]
	s_cbranch_execz .LBB2_845
; %bb.833:                              ;   in Loop: Header=BB2_21 Depth=1
	s_mov_b64 s[48:49], exec
	v_mbcnt_lo_u32_b32 v0, s48, 0
	v_mbcnt_hi_u32_b32 v0, s49, v0
	v_cmp_eq_u32_e32 vcc, 0, v0
	s_waitcnt vmcnt(0) lgkmcnt(0)
	buffer_wbinvl1_vol
	s_and_saveexec_b64 s[46:47], vcc
	s_cbranch_execz .LBB2_835
; %bb.834:                              ;   in Loop: Header=BB2_21 Depth=1
	s_bcnt1_i32_b64 vcc_lo, s[48:49]
	v_mov_b32_e32 v22, vcc_lo
	ds_add_u64 v0, v[22:23]
	s_trap 2
.LBB2_835:                              ;   in Loop: Header=BB2_21 Depth=1
	s_or_b64 exec, exec, s[46:47]
	s_trap 2
	ds_read_b64 v[0:1], v0
	v_accvgpr_read_b32 v2, a26
	v_add_co_u32_e32 v42, vcc, v42, v2
	v_accvgpr_read_b32 v3, a27
	v_addc_co_u32_e32 v43, vcc, v43, v3, vcc
	s_waitcnt lgkmcnt(0)
	v_cmp_lt_u64_e32 vcc, v[0:1], v[42:43]
	s_and_saveexec_b64 s[46:47], vcc
	s_cbranch_execz .LBB2_844
; %bb.836:                              ;   in Loop: Header=BB2_21 Depth=1
	s_mov_b32 s58, 0
	s_mov_b64 s[48:49], 0
                                        ; implicit-def: $sgpr50_sgpr51
                                        ; implicit-def: $sgpr52_sgpr53
	s_branch .LBB2_838
.LBB2_837:                              ;   in Loop: Header=BB2_838 Depth=2
	s_or_b64 exec, exec, s[56:57]
	s_and_b64 vcc, exec, vcc
	s_or_b64 s[48:49], vcc, s[48:49]
	s_andn2_b64 vcc, s[50:51], exec
	s_and_b64 s[50:51], s[52:53], exec
	s_or_b64 s[50:51], vcc, s[50:51]
	s_andn2_b64 exec, exec, s[48:49]
	s_cbranch_execz .LBB2_842
.LBB2_838:                              ;   Parent Loop BB2_21 Depth=1
                                        ; =>  This Inner Loop Header: Depth=2
	s_add_i32 s58, s58, 1
	s_cmpk_lg_i32 s58, 0x2710
	s_cselect_b64 s[54:55], -1, 0
	s_and_b64 vcc, exec, s[54:55]
                                        ; implicit-def: $sgpr56_sgpr57
	s_cbranch_vccnz .LBB2_840
; %bb.839:                              ;   in Loop: Header=BB2_838 Depth=2
	s_trap 2
	ds_read_b64 v[0:1], v0
	s_andn2_b64 s[54:55], s[54:55], exec
	s_mov_b32 s58, 0
	s_mov_b64 s[56:57], -1
	s_waitcnt lgkmcnt(0)
	flat_load_dword v0, v[0:1] glc
	s_waitcnt vmcnt(0) lgkmcnt(0)
	buffer_invl2
	buffer_wbinvl1_vol
	v_cmp_eq_u32_e32 vcc, 0, v0
	s_and_b64 vcc, vcc, exec
	s_or_b64 s[54:55], s[54:55], vcc
.LBB2_840:                              ;   in Loop: Header=BB2_838 Depth=2
	s_andn2_b64 s[52:53], s[52:53], exec
	s_and_b64 s[56:57], s[56:57], exec
	s_mov_b64 vcc, -1
	s_or_b64 s[52:53], s[52:53], s[56:57]
	s_and_saveexec_b64 s[56:57], s[54:55]
	s_cbranch_execz .LBB2_837
; %bb.841:                              ;   in Loop: Header=BB2_838 Depth=2
	s_sleep 1
	s_trap 2
	ds_read_b64 v[0:1], v0
	s_andn2_b64 s[52:53], s[52:53], exec
	s_waitcnt lgkmcnt(0)
	v_cmp_ge_u64_e32 vcc, v[0:1], v[42:43]
	s_orn2_b64 vcc, vcc, exec
	s_branch .LBB2_837
.LBB2_842:                              ;   in Loop: Header=BB2_21 Depth=1
	s_or_b64 exec, exec, s[48:49]
	s_and_saveexec_b64 vcc, s[50:51]
	s_xor_b64 vcc, exec, vcc
	s_cbranch_execz .LBB2_844
; %bb.843:                              ;   in Loop: Header=BB2_21 Depth=1
	v_mov_b32_e32 v0, 1
	ds_write_b32 v0, v0
	s_trap 2
.LBB2_844:                              ;   in Loop: Header=BB2_21 Depth=1
	s_or_b64 exec, exec, s[46:47]
	;;#ASMSTART
	s_wakeup
	;;#ASMEND
.LBB2_845:                              ;   in Loop: Header=BB2_21 Depth=1
	s_or_b64 exec, exec, s[44:45]
.LBB2_846:                              ;   in Loop: Header=BB2_21 Depth=1
	s_andn2_saveexec_b64 s[20:21], s[20:21]
	s_cbranch_execz .LBB2_848
; %bb.847:                              ;   in Loop: Header=BB2_21 Depth=1
	s_waitcnt vmcnt(0) lgkmcnt(0)
	buffer_wbinvl1_vol
	s_barrier
.LBB2_848:                              ;   in Loop: Header=BB2_21 Depth=1
	s_or_b64 exec, exec, s[20:21]
.LBB2_849:                              ;   in Loop: Header=BB2_21 Depth=1
	s_or_b64 exec, exec, s[18:19]
	s_and_saveexec_b64 s[18:19], s[16:17]
	s_cbranch_execz .LBB2_20
; %bb.850:                              ;   in Loop: Header=BB2_21 Depth=1
	v_add_co_u32_e32 v38, vcc, 1, v38
	v_accvgpr_read_b32 v0, a20
	v_addc_co_u32_e32 v39, vcc, 0, v39, vcc
	v_accvgpr_read_b32 v1, a21
	flat_store_dwordx2 v[0:1], v[38:39]
	s_branch .LBB2_20
.LBB2_851:
	s_or_b64 exec, exec, s[28:29]
	v_accvgpr_read_b32 v23, a13
	v_accvgpr_read_b32 v29, a15
	;; [unrolled: 1-line block ×6, first 2 shown]
.LBB2_852:
	s_or_b64 exec, exec, s[26:27]
; %bb.853:
	s_and_saveexec_b64 s[6:7], s[24:25]
	s_cbranch_execnz .LBB2_856
; %bb.854:
	s_or_b64 exec, exec, s[6:7]
	s_and_saveexec_b64 s[6:7], s[4:5]
	s_cbranch_execnz .LBB2_857
.LBB2_855:
	s_or_b64 exec, exec, s[6:7]
	v_cmp_ne_u32_e32 vcc, 64, v20
	s_and_saveexec_b64 s[4:5], vcc
	s_cbranch_execnz .LBB2_858
	s_branch .LBB2_875
.LBB2_856:
	s_waitcnt vmcnt(0) lgkmcnt(0)
	flat_store_dwordx2 v[28:29], v[38:39] offset:104
	s_or_b64 exec, exec, s[6:7]
	s_and_saveexec_b64 s[6:7], s[4:5]
	s_cbranch_execz .LBB2_855
.LBB2_857:
	s_waitcnt vmcnt(0) lgkmcnt(0)
	flat_store_dwordx2 v[22:23], v[14:15] offset:104
	s_or_b64 exec, exec, s[6:7]
	v_cmp_ne_u32_e32 vcc, 64, v20
	s_and_saveexec_b64 s[4:5], vcc
	s_cbranch_execz .LBB2_875
.LBB2_858:
	v_cmp_ne_u32_sdwa s[6:7], v9, v20 src0_sel:WORD_0 src1_sel:DWORD
	s_and_saveexec_b64 s[8:9], s[6:7]
	s_xor_b64 s[6:7], exec, s[8:9]
	s_cbranch_execz .LBB2_873
; %bb.859:
	v_and_b32_e32 v0, 63, v31
	v_cmp_eq_u32_e32 vcc, 0, v0
	s_and_saveexec_b64 s[8:9], vcc
	s_cbranch_execz .LBB2_872
; %bb.860:
	s_mov_b64 s[12:13], exec
	v_mbcnt_lo_u32_b32 v0, s12, 0
	v_mbcnt_hi_u32_b32 v0, s13, v0
	v_cmp_eq_u32_e32 vcc, 0, v0
	s_waitcnt vmcnt(0) lgkmcnt(0)
	buffer_wbinvl1_vol
	s_and_saveexec_b64 s[10:11], vcc
	s_cbranch_execz .LBB2_862
; %bb.861:
	s_bcnt1_i32_b64 s12, s[12:13]
	v_mov_b32_e32 v0, s12
	v_mov_b32_e32 v1, 0
	ds_add_u64 v0, v[0:1]
	s_trap 2
.LBB2_862:
	s_or_b64 exec, exec, s[10:11]
	v_ashrrev_i32_e32 v0, 31, v20
	v_lshrrev_b32_e32 v0, 26, v0
	v_add_u32_e32 v0, v20, v0
	v_ashrrev_i32_e32 v0, 6, v0
	s_trap 2
	ds_read_b64 v[2:3], v0
	v_ashrrev_i32_e32 v1, 31, v0
	v_add_co_u32_e32 v0, vcc, v42, v0
	v_addc_co_u32_e32 v1, vcc, v43, v1, vcc
	s_waitcnt lgkmcnt(0)
	v_cmp_lt_u64_e32 vcc, v[2:3], v[0:1]
	s_and_saveexec_b64 s[10:11], vcc
	s_cbranch_execz .LBB2_871
; %bb.863:
	s_mov_b32 s24, 0
	s_mov_b64 s[12:13], 0
                                        ; implicit-def: $sgpr14_sgpr15
                                        ; implicit-def: $sgpr16_sgpr17
	s_branch .LBB2_865
.LBB2_864:                              ;   in Loop: Header=BB2_865 Depth=1
	s_or_b64 exec, exec, s[22:23]
	s_and_b64 s[18:19], exec, s[20:21]
	s_or_b64 s[12:13], s[18:19], s[12:13]
	s_andn2_b64 s[14:15], s[14:15], exec
	s_and_b64 s[18:19], s[16:17], exec
	s_or_b64 s[14:15], s[14:15], s[18:19]
	s_andn2_b64 exec, exec, s[12:13]
	s_cbranch_execz .LBB2_869
.LBB2_865:                              ; =>This Inner Loop Header: Depth=1
	s_add_i32 s24, s24, 1
	s_cmpk_lg_i32 s24, 0x2710
	s_cselect_b64 s[18:19], -1, 0
	s_and_b64 vcc, exec, s[18:19]
                                        ; implicit-def: $sgpr22_sgpr23
	s_cbranch_vccnz .LBB2_867
; %bb.866:                              ;   in Loop: Header=BB2_865 Depth=1
	s_trap 2
	ds_read_b64 v[2:3], v0
	s_andn2_b64 s[18:19], s[18:19], exec
	s_mov_b32 s24, 0
	s_mov_b64 s[22:23], -1
	s_waitcnt lgkmcnt(0)
	flat_load_dword v2, v[2:3] glc
	s_waitcnt vmcnt(0) lgkmcnt(0)
	buffer_invl2
	buffer_wbinvl1_vol
	v_cmp_eq_u32_e32 vcc, 0, v2
	s_and_b64 s[20:21], vcc, exec
	s_or_b64 s[18:19], s[18:19], s[20:21]
.LBB2_867:                              ;   in Loop: Header=BB2_865 Depth=1
	s_andn2_b64 s[16:17], s[16:17], exec
	s_and_b64 s[22:23], s[22:23], exec
	s_mov_b64 s[20:21], -1
	s_or_b64 s[16:17], s[16:17], s[22:23]
	s_and_saveexec_b64 s[22:23], s[18:19]
	s_cbranch_execz .LBB2_864
; %bb.868:                              ;   in Loop: Header=BB2_865 Depth=1
	s_sleep 1
	s_trap 2
	ds_read_b64 v[2:3], v0
	s_andn2_b64 s[16:17], s[16:17], exec
	s_waitcnt lgkmcnt(0)
	v_cmp_ge_u64_e32 vcc, v[2:3], v[0:1]
	s_orn2_b64 s[20:21], vcc, exec
	s_branch .LBB2_864
.LBB2_869:
	s_or_b64 exec, exec, s[12:13]
	s_and_saveexec_b64 s[12:13], s[14:15]
	s_xor_b64 s[12:13], exec, s[12:13]
	s_cbranch_execz .LBB2_871
; %bb.870:
	v_mov_b32_e32 v0, 1
	ds_write_b32 v0, v0
	s_trap 2
.LBB2_871:
	s_or_b64 exec, exec, s[10:11]
	;;#ASMSTART
	s_wakeup
	;;#ASMEND
.LBB2_872:
	s_or_b64 exec, exec, s[8:9]
.LBB2_873:
	s_andn2_saveexec_b64 s[6:7], s[6:7]
	s_cbranch_execz .LBB2_875
; %bb.874:
	s_waitcnt vmcnt(0) lgkmcnt(0)
	buffer_wbinvl1_vol
	s_barrier
.LBB2_875:
	s_or_b64 exec, exec, s[4:5]
	buffer_load_dword a45, off, s[0:3], s32 ; 4-byte Folded Reload
	buffer_load_dword a44, off, s[0:3], s32 offset:4 ; 4-byte Folded Reload
	buffer_load_dword a43, off, s[0:3], s32 offset:8 ; 4-byte Folded Reload
	;; [unrolled: 1-line block ×28, first 2 shown]
	v_readlane_b32 s30, v63, 39
	v_readlane_b32 s31, v63, 40
	v_readlane_b32 s72, v63, 38
	v_readlane_b32 s71, v63, 37
	v_readlane_b32 s70, v63, 36
	v_readlane_b32 s69, v63, 35
	v_readlane_b32 s68, v63, 34
	v_readlane_b32 s67, v63, 33
	v_readlane_b32 s66, v63, 32
	v_readlane_b32 s65, v63, 31
	v_readlane_b32 s64, v63, 30
	v_readlane_b32 s63, v63, 29
	v_readlane_b32 s62, v63, 28
	v_readlane_b32 s61, v63, 27
	v_readlane_b32 s60, v63, 26
	v_readlane_b32 s59, v63, 25
	v_readlane_b32 s58, v63, 24
	v_readlane_b32 s57, v63, 23
	v_readlane_b32 s56, v63, 22
	v_readlane_b32 s55, v63, 21
	v_readlane_b32 s54, v63, 20
	v_readlane_b32 s53, v63, 19
	v_readlane_b32 s52, v63, 18
	v_readlane_b32 s51, v63, 17
	v_readlane_b32 s50, v63, 16
	v_readlane_b32 s49, v63, 15
	v_readlane_b32 s48, v63, 14
	v_readlane_b32 s47, v63, 13
	v_readlane_b32 s46, v63, 12
	v_readlane_b32 s45, v63, 11
	v_readlane_b32 s44, v63, 10
	v_readlane_b32 s43, v63, 9
	v_readlane_b32 s42, v63, 8
	v_readlane_b32 s41, v63, 7
	v_readlane_b32 s40, v63, 6
	v_readlane_b32 s39, v63, 5
	v_readlane_b32 s38, v63, 4
	v_readlane_b32 s37, v63, 3
	v_readlane_b32 s36, v63, 2
	v_readlane_b32 s35, v63, 1
	v_readlane_b32 s34, v63, 0
	s_or_saveexec_b64 s[4:5], -1
	buffer_load_dword v63, off, s[0:3], s32 offset:116 ; 4-byte Folded Reload
	s_mov_b64 exec, s[4:5]
	s_waitcnt vmcnt(0) lgkmcnt(0)
	s_setpc_b64 s[30:31]
.Lfunc_end2:
	.size	_ZN12_GLOBAL__N_17runRingI14__hip_fp8_e4m310FuncMinMaxIS1_E7ProtoLLLi0ELi2ELi0EEEviiP15ncclDevWorkColl, .Lfunc_end2-_ZN12_GLOBAL__N_17runRingI14__hip_fp8_e4m310FuncMinMaxIS1_E7ProtoLLLi0ELi2ELi0EEEviiP15ncclDevWorkColl
                                        ; -- End function
	.section	.AMDGPU.csdata,"",@progbits
; Function info:
; codeLenInByte = 27076
; NumSgprs: 77
; NumVgprs: 64
; NumAgprs: 46
; TotalNumVgprs: 110
; ScratchSize: 124
; MemoryBound: 0
	.text
	.p2align	2                               ; -- Begin function _Z53ncclDevFunc_ReduceScatter_RING_LL_MinMax_f8e4m3_0_0_2v
	.type	_Z53ncclDevFunc_ReduceScatter_RING_LL_MinMax_f8e4m3_0_0_2v,@function
_Z53ncclDevFunc_ReduceScatter_RING_LL_MinMax_f8e4m3_0_0_2v: ; @_Z53ncclDevFunc_ReduceScatter_RING_LL_MinMax_f8e4m3_0_0_2v
; %bb.0:
	s_waitcnt vmcnt(0) expcnt(0) lgkmcnt(0)
	s_mov_b32 s4, s33
	s_mov_b32 s33, s32
	s_or_saveexec_b64 s[6:7], -1
	buffer_store_dword v43, off, s[0:3], s33 offset:16 ; 4-byte Folded Spill
	s_mov_b64 exec, s[6:7]
	v_writelane_b32 v43, s4, 49
	s_addk_i32 s32, 0x800
	buffer_store_dword v40, off, s[0:3], s33 offset:12 ; 4-byte Folded Spill
	buffer_store_dword v41, off, s[0:3], s33 offset:8 ; 4-byte Folded Spill
	;; [unrolled: 1-line block ×3, first 2 shown]
	buffer_store_dword v63, off, s[0:3], s33 ; 4-byte Folded Spill
	v_writelane_b32 v43, s34, 0
	v_writelane_b32 v43, s35, 1
	;; [unrolled: 1-line block ×49, first 2 shown]
	s_trap 2
	ds_read_b32 v0, v0
	v_mov_b32_e32 v40, v31
	v_and_b32_e32 v41, 0x3ff, v40
	s_mov_b32 s73, s12
	s_mov_b64 s[74:75], s[8:9]
	s_waitcnt lgkmcnt(0)
	v_cmp_lt_i32_e32 vcc, v41, v0
	s_and_saveexec_b64 s[4:5], vcc
	s_cbranch_execz .LBB3_5
; %bb.1:
	s_load_dword s6, s[74:75], 0x0
	v_mov_b32_e32 v1, 0
	s_mov_b32 s10, 0
	v_mov_b32_e32 v4, v41
                                        ; implicit-def: $vgpr2
	s_waitcnt lgkmcnt(0)
	s_cmp_lt_u32 s73, s6
	s_cselect_b32 s6, 12, 18
	s_add_u32 s6, s74, s6
	s_addc_u32 s7, s75, 0
	global_load_ushort v1, v1, s[6:7]
	s_trap 2
	ds_read_b32 v3, v0
	s_mov_b64 s[6:7], 0
	s_waitcnt vmcnt(0) lgkmcnt(0)
	v_mul_lo_u32 v3, v3, v1
	s_branch .LBB3_3
.LBB3_2:                                ;   in Loop: Header=BB3_3 Depth=1
	s_or_b64 exec, exec, s[8:9]
	v_add_u32_e32 v4, v4, v1
	v_cmp_ge_i32_e32 vcc, v4, v0
	s_or_b64 s[6:7], vcc, s[6:7]
	v_add_u32_e32 v2, v2, v3
	s_andn2_b64 exec, exec, s[6:7]
	s_cbranch_execz .LBB3_5
.LBB3_3:                                ; =>This Inner Loop Header: Depth=1
	ds_read_b32 v5, v2
	s_waitcnt lgkmcnt(0)
	v_and_b32_e32 v5, 0x1000000, v5
	v_cmp_ne_u32_e32 vcc, 0, v5
	s_and_saveexec_b64 s[8:9], vcc
	s_cbranch_execz .LBB3_2
; %bb.4:                                ;   in Loop: Header=BB3_3 Depth=1
	ds_read_b64 v[6:7], v2 offset:104
	s_waitcnt lgkmcnt(0)
	flat_load_ubyte v5, v[6:7]
	v_mov_b32_e32 v7, s10
	s_waitcnt vmcnt(0) lgkmcnt(0)
	v_and_b32_e32 v6, 0xffff, v5
	ds_write_b64 v2, v[6:7] offset:104
	s_branch .LBB3_2
.LBB3_5:
	s_or_b64 exec, exec, s[4:5]
	s_waitcnt lgkmcnt(0)
	s_barrier
	s_trap 2
	ds_read_b32 v0, v0
	s_waitcnt lgkmcnt(0)
	v_cmp_gt_i32_e32 vcc, 1, v0
	s_cbranch_vccnz .LBB3_13
; %bb.6:
	s_mov_b32 s80, 0
	s_mov_b64 s[76:77], src_shared_base
	v_mov_b32_e32 v42, 6
	s_branch .LBB3_8
.LBB3_7:                                ;   in Loop: Header=BB3_8 Depth=1
	s_or_b64 exec, exec, s[78:79]
	s_trap 2
	ds_read_b32 v0, v0
	s_add_i32 s80, s80, 1
	s_waitcnt lgkmcnt(0)
	v_cmp_lt_i32_e32 vcc, s80, v0
	s_cbranch_vccz .LBB3_13
.LBB3_8:                                ; =>This Inner Loop Header: Depth=1
	s_trap 2
	ds_read_b32 v0, v0
	s_cmp_eq_u32 s80, 0
	s_cbranch_scc1 .LBB3_11
; %bb.9:                                ;   in Loop: Header=BB3_8 Depth=1
	s_trap 2
	s_waitcnt lgkmcnt(0)
	ds_read_b32 v1, v0
	s_waitcnt lgkmcnt(0)
	v_xor_b32_e32 v1, v1, v0
	v_and_b32_e32 v1, 0xff0000, v1
	v_cmp_eq_u32_e32 vcc, 0, v1
	s_cbranch_vccnz .LBB3_11
; %bb.10:                               ;   in Loop: Header=BB3_8 Depth=1
	s_barrier
	ds_read_b32 v0, v0
.LBB3_11:                               ;   in Loop: Header=BB3_8 Depth=1
	s_waitcnt lgkmcnt(0)
	v_lshlrev_b32_sdwa v1, v42, v0 dst_sel:DWORD dst_unused:UNUSED_PAD src0_sel:DWORD src1_sel:BYTE_2
	v_cmp_lt_u32_e32 vcc, v41, v1
	s_and_saveexec_b64 s[78:79], vcc
	s_cbranch_execz .LBB3_7
; %bb.12:                               ;   in Loop: Header=BB3_8 Depth=1
	s_mov_b64 s[8:9], s[74:75]
	s_mov_b32 s12, s73
	v_mov_b32_e32 v31, v40
	v_mov_b32_e32 v0, v41
	;; [unrolled: 1-line block ×3, first 2 shown]
	s_getpc_b64 s[4:5]
	s_add_u32 s4, s4, _ZN12_GLOBAL__N_17runRingI14__hip_fp8_e4m310FuncMinMaxIS1_E7ProtoLLLi0ELi2ELi0EEEviiP15ncclDevWorkColl@rel32@lo+4
	s_addc_u32 s5, s5, _ZN12_GLOBAL__N_17runRingI14__hip_fp8_e4m310FuncMinMaxIS1_E7ProtoLLLi0ELi2ELi0EEEviiP15ncclDevWorkColl@rel32@hi+12
	s_swappc_b64 s[30:31], s[4:5]
	s_branch .LBB3_7
.LBB3_13:
	buffer_load_dword v63, off, s[0:3], s33 ; 4-byte Folded Reload
	buffer_load_dword v42, off, s[0:3], s33 offset:4 ; 4-byte Folded Reload
	buffer_load_dword v41, off, s[0:3], s33 offset:8 ; 4-byte Folded Reload
	buffer_load_dword v40, off, s[0:3], s33 offset:12 ; 4-byte Folded Reload
	v_readlane_b32 s30, v43, 47
	v_readlane_b32 s31, v43, 48
	v_readlane_b32 s80, v43, 46
	v_readlane_b32 s79, v43, 45
	v_readlane_b32 s78, v43, 44
	v_readlane_b32 s77, v43, 43
	v_readlane_b32 s76, v43, 42
	v_readlane_b32 s75, v43, 41
	v_readlane_b32 s74, v43, 40
	v_readlane_b32 s73, v43, 39
	v_readlane_b32 s72, v43, 38
	v_readlane_b32 s71, v43, 37
	v_readlane_b32 s70, v43, 36
	v_readlane_b32 s69, v43, 35
	v_readlane_b32 s68, v43, 34
	v_readlane_b32 s67, v43, 33
	v_readlane_b32 s66, v43, 32
	v_readlane_b32 s65, v43, 31
	v_readlane_b32 s64, v43, 30
	v_readlane_b32 s63, v43, 29
	v_readlane_b32 s62, v43, 28
	v_readlane_b32 s61, v43, 27
	v_readlane_b32 s60, v43, 26
	v_readlane_b32 s59, v43, 25
	v_readlane_b32 s58, v43, 24
	v_readlane_b32 s57, v43, 23
	v_readlane_b32 s56, v43, 22
	v_readlane_b32 s55, v43, 21
	v_readlane_b32 s54, v43, 20
	v_readlane_b32 s53, v43, 19
	v_readlane_b32 s52, v43, 18
	v_readlane_b32 s51, v43, 17
	v_readlane_b32 s50, v43, 16
	v_readlane_b32 s49, v43, 15
	v_readlane_b32 s48, v43, 14
	v_readlane_b32 s47, v43, 13
	v_readlane_b32 s46, v43, 12
	v_readlane_b32 s45, v43, 11
	v_readlane_b32 s44, v43, 10
	v_readlane_b32 s43, v43, 9
	v_readlane_b32 s42, v43, 8
	v_readlane_b32 s41, v43, 7
	v_readlane_b32 s40, v43, 6
	v_readlane_b32 s39, v43, 5
	v_readlane_b32 s38, v43, 4
	v_readlane_b32 s37, v43, 3
	v_readlane_b32 s36, v43, 2
	v_readlane_b32 s35, v43, 1
	v_readlane_b32 s34, v43, 0
	v_readlane_b32 s4, v43, 49
	s_or_saveexec_b64 s[6:7], -1
	buffer_load_dword v43, off, s[0:3], s33 offset:16 ; 4-byte Folded Reload
	s_mov_b64 exec, s[6:7]
	s_addk_i32 s32, 0xf800
	s_mov_b32 s33, s4
	s_waitcnt vmcnt(0)
	s_setpc_b64 s[30:31]
.Lfunc_end3:
	.size	_Z53ncclDevFunc_ReduceScatter_RING_LL_MinMax_f8e4m3_0_0_2v, .Lfunc_end3-_Z53ncclDevFunc_ReduceScatter_RING_LL_MinMax_f8e4m3_0_0_2v
                                        ; -- End function
	.section	.AMDGPU.csdata,"",@progbits
; Function info:
; codeLenInByte = 1392
; NumSgprs: 85
; NumVgprs: 64
; NumAgprs: 46
; TotalNumVgprs: 110
; ScratchSize: 156
; MemoryBound: 0
	.text
	.p2align	2                               ; -- Begin function _ZN12_GLOBAL__N_17runRingI14__hip_fp8_e4m310FuncMinMaxIS1_E7ProtoLLLi0ELi4ELi0EEEviiP15ncclDevWorkColl
	.type	_ZN12_GLOBAL__N_17runRingI14__hip_fp8_e4m310FuncMinMaxIS1_E7ProtoLLLi0ELi4ELi0EEEviiP15ncclDevWorkColl,@function
_ZN12_GLOBAL__N_17runRingI14__hip_fp8_e4m310FuncMinMaxIS1_E7ProtoLLLi0ELi4ELi0EEEviiP15ncclDevWorkColl: ; @_ZN12_GLOBAL__N_17runRingI14__hip_fp8_e4m310FuncMinMaxIS1_E7ProtoLLLi0ELi4ELi0EEEviiP15ncclDevWorkColl
; %bb.0:
	s_waitcnt vmcnt(0) expcnt(0) lgkmcnt(0)
	s_or_saveexec_b64 s[4:5], -1
	buffer_store_dword v63, off, s[0:3], s32 offset:116 ; 4-byte Folded Spill
	s_mov_b64 exec, s[4:5]
	buffer_store_dword v40, off, s[0:3], s32 offset:112 ; 4-byte Folded Spill
	buffer_store_dword v41, off, s[0:3], s32 offset:108 ; 4-byte Folded Spill
	;; [unrolled: 1-line block ×28, first 2 shown]
	buffer_store_dword a45, off, s[0:3], s32 ; 4-byte Folded Spill
	v_writelane_b32 v63, s34, 0
	v_writelane_b32 v63, s35, 1
	v_writelane_b32 v63, s36, 2
	v_writelane_b32 v63, s37, 3
	v_writelane_b32 v63, s38, 4
	v_writelane_b32 v63, s39, 5
	v_writelane_b32 v63, s40, 6
	v_writelane_b32 v63, s41, 7
	v_writelane_b32 v63, s42, 8
	v_writelane_b32 v63, s43, 9
	v_writelane_b32 v63, s44, 10
	v_writelane_b32 v63, s45, 11
	v_writelane_b32 v63, s46, 12
	v_writelane_b32 v63, s47, 13
	v_writelane_b32 v63, s48, 14
	v_writelane_b32 v63, s49, 15
	v_writelane_b32 v63, s50, 16
	v_writelane_b32 v63, s51, 17
	v_writelane_b32 v63, s52, 18
	v_writelane_b32 v63, s53, 19
	v_writelane_b32 v63, s54, 20
	v_writelane_b32 v63, s55, 21
	v_writelane_b32 v63, s56, 22
	v_writelane_b32 v63, s57, 23
	v_writelane_b32 v63, s58, 24
	v_writelane_b32 v63, s59, 25
	v_writelane_b32 v63, s60, 26
	v_writelane_b32 v63, s61, 27
	v_writelane_b32 v63, s62, 28
	v_writelane_b32 v63, s63, 29
	v_writelane_b32 v63, s64, 30
	v_writelane_b32 v63, s65, 31
	v_writelane_b32 v63, s66, 32
	v_writelane_b32 v63, s67, 33
	v_writelane_b32 v63, s68, 34
	v_writelane_b32 v63, s69, 35
	v_writelane_b32 v63, s70, 36
	v_writelane_b32 v63, s71, 37
	v_writelane_b32 v63, s72, 38
	v_writelane_b32 v63, s30, 39
	v_writelane_b32 v63, s31, 40
	v_mov_b32_e32 v20, v1
	v_mov_b32_e32 v44, v0
	s_trap 2
	flat_load_dword v7, v[2:3]
	flat_load_dwordx4 v[24:27], v[2:3] offset:72
	flat_load_dwordx2 v[0:1], v[2:3] offset:88
                                        ; implicit-def: $agpr6_agpr7
	s_waitcnt vmcnt(0) lgkmcnt(0)
	ds_read_b32 v5, v0
	ds_read_b64 a[4:5], v0
	v_not_b32_sdwa v6, v7 dst_sel:DWORD dst_unused:UNUSED_PAD src0_sel:BYTE_0
	v_add_u32_sdwa v4, v7, v6 dst_sel:DWORD dst_unused:UNUSED_PAD src0_sel:BYTE_1 src1_sel:DWORD
	v_ashrrev_i32_e32 v10, 31, v4
	v_mul_lo_u32 v11, v27, v4
	v_mad_u64_u32 v[8:9], s[4:5], v26, v4, 0
	v_mul_lo_u32 v4, v26, v10
	s_waitcnt lgkmcnt(1)
	v_readfirstlane_b32 s22, v5
	v_add3_u32 v4, v9, v4, v11
	v_cmp_ne_u32_sdwa s[4:5], v7, v5 src0_sel:BYTE_0 src1_sel:DWORD
                                        ; implicit-def: $vgpr10_vgpr11
	s_and_saveexec_b64 s[6:7], s[4:5]
	s_xor_b64 s[4:5], exec, s[6:7]
	s_cbranch_execz .LBB4_6
; %bb.1:
	v_cmp_ne_u32_sdwa s[6:7], v7, v5 src0_sel:BYTE_1 src1_sel:DWORD
                                        ; implicit-def: $vgpr10_vgpr11
                                        ; implicit-def: $agpr6_agpr7
	s_and_saveexec_b64 s[10:11], s[6:7]
	s_xor_b64 s[6:7], exec, s[10:11]
	s_cbranch_execz .LBB4_3
; %bb.2:
	flat_load_dwordx2 v[10:11], v[2:3] offset:96
	v_add_u32_e32 v5, v5, v6
	v_ashrrev_i32_e32 v6, 31, v5
	v_mul_lo_u32 v6, v26, v6
	v_mul_lo_u32 v7, v27, v5
	v_mad_u64_u32 v[12:13], s[10:11], v26, v5, v[24:25]
	v_add3_u32 v13, v7, v13, v6
	v_accvgpr_write_b32 a6, v12
	v_accvgpr_write_b32 a7, v13
	s_waitcnt vmcnt(0) lgkmcnt(0)
	v_lshrrev_b64 v[10:11], 17, v[10:11]
.LBB4_3:
	s_andn2_saveexec_b64 s[6:7], s[6:7]
	s_cbranch_execz .LBB4_5
; %bb.4:
	flat_load_dword v5, v[2:3] offset:100
	v_add_co_u32_e32 v6, vcc, v8, v24
	v_addc_co_u32_e32 v7, vcc, v4, v25, vcc
	v_accvgpr_write_b32 a6, v6
	v_accvgpr_write_b32 a7, v7
	v_pk_mov_b32 v[26:27], v[0:1], v[0:1] op_sel:[0,1]
	s_waitcnt vmcnt(0) lgkmcnt(0)
	v_lshrrev_b32_e32 v10, 6, v5
.LBB4_5:
	s_or_b64 exec, exec, s[6:7]
.LBB4_6:
	s_andn2_saveexec_b64 s[4:5], s[4:5]
	s_cbranch_execz .LBB4_8
; %bb.7:
	flat_load_dwordx2 v[6:7], v[2:3] offset:96
	v_pk_mov_b32 v[10:11], 0, 0
	v_accvgpr_write_b32 a6, v10
	v_accvgpr_write_b32 a7, v11
	v_pk_mov_b32 v[26:27], v[24:25], v[24:25] op_sel:[0,1]
	s_waitcnt vmcnt(0) lgkmcnt(0)
	v_lshlrev_b64 v[10:11], 4, v[6:7]
.LBB4_8:
	s_or_b64 exec, exec, s[4:5]
	s_load_dword s4, s[8:9], 0x0
	flat_load_dwordx2 v[18:19], v[2:3] offset:104
	flat_load_ushort v7, v[2:3] offset:8
	flat_load_dword v6, v[2:3] offset:4
	flat_load_dwordx4 a[8:11], v[2:3] offset:16
	v_mov_b32_e32 v3, 0
	v_and_b32_e32 v5, 63, v44
	s_waitcnt lgkmcnt(0)
	s_cmp_lt_u32 s12, s4
	s_cselect_b32 s4, 12, 18
	s_add_u32 s4, s8, s4
	s_addc_u32 s5, s9, 0
	global_load_ushort v9, v3, s[4:5]
	s_trap 2
	ds_read_b32 v2, v0
	s_mov_b32 s6, 0
	v_pk_mov_b32 v[22:23], 0, 0
	v_cmp_eq_u32_e64 s[4:5], 0, v5
	s_waitcnt lgkmcnt(0)
	v_cmp_gt_i32_e32 vcc, 0, v2
	v_readfirstlane_b32 s8, v2
	s_waitcnt vmcnt(0)
	v_lshrrev_b64 v[6:7], 31, v[6:7]
	v_and_b32_e32 v6, 3, v6
	s_cbranch_vccnz .LBB4_10
; %bb.9:
	s_trap 2
	ds_read_b64 v[12:13], v0
	v_lshlrev_b64 v[2:3], 3, v[2:3]
	v_and_b32_e32 v7, 0xffff, v6
	s_movk_i32 s6, 0xa8
	s_waitcnt lgkmcnt(0)
	v_add_co_u32_e32 v2, vcc, v12, v2
	v_addc_co_u32_e32 v3, vcc, v13, v3, vcc
	flat_load_dwordx2 v[2:3], v[2:3]
	s_waitcnt vmcnt(0) lgkmcnt(0)
	v_mad_u64_u32 v[2:3], s[6:7], v7, s6, v[2:3]
	flat_load_dwordx2 a[16:17], v[2:3] offset:504
	flat_load_dwordx2 v[34:35], v[2:3] offset:608
	v_add_co_u32_e32 v2, vcc, 0x1f8, v2
	v_addc_co_u32_e32 v3, vcc, 0, v3, vcc
	v_cndmask_b32_e64 v29, 0, v3, s[4:5]
	v_cndmask_b32_e64 v28, 0, v2, s[4:5]
	s_mov_b32 s6, 1
	s_branch .LBB4_11
.LBB4_10:
	v_pk_mov_b32 v[28:29], v[22:23], v[22:23] op_sel:[0,1]
                                        ; implicit-def: $vgpr34_vgpr35
                                        ; implicit-def: $agpr16_agpr17
.LBB4_11:
	s_trap 2
	ds_read_b32 v2, v0
	s_waitcnt lgkmcnt(0)
	v_cmp_gt_i32_e32 vcc, 0, v2
	s_cbranch_vccnz .LBB4_13
; %bb.12:
	s_trap 2
	ds_read_b64 v[12:13], v0
	v_mov_b32_e32 v3, 0
	v_lshlrev_b64 v[2:3], 3, v[2:3]
	v_and_b32_e32 v6, 0xffff, v6
	s_movk_i32 s4, 0xa8
	s_waitcnt lgkmcnt(0)
	v_add_co_u32_e32 v2, vcc, v12, v2
	v_addc_co_u32_e32 v3, vcc, v13, v3, vcc
	flat_load_dwordx2 v[2:3], v[2:3]
	v_cmp_eq_u32_e32 vcc, 0, v5
	s_waitcnt vmcnt(0) lgkmcnt(0)
	v_mad_u64_u32 v[2:3], s[4:5], v6, s4, v[2:3]
	flat_load_dwordx2 a[18:19], v[2:3]
	flat_load_dwordx2 v[16:17], v[2:3] offset:104
	v_cndmask_b32_e32 v23, 0, v3, vcc
	v_cndmask_b32_e32 v22, 0, v2, vcc
	s_branch .LBB4_14
.LBB4_13:
                                        ; implicit-def: $vgpr16_vgpr17
                                        ; implicit-def: $agpr18_agpr19
.LBB4_14:
	v_subrev_u32_e32 v2, 64, v20
	v_pk_mov_b32 v[12:13], 0, 0
	v_cmp_le_i32_e32 vcc, v2, v44
	v_cmp_gt_u32_e64 s[4:5], s6, v5
	v_accvgpr_write_b32 a21, v13
	s_and_b64 s[24:25], vcc, s[4:5]
	v_accvgpr_write_b32 a20, v12
                                        ; implicit-def: $vgpr38_vgpr39
	s_and_saveexec_b64 s[4:5], s[24:25]
	s_cbranch_execz .LBB4_16
; %bb.15:
	flat_load_dwordx2 a[20:21], v[28:29] offset:56
	flat_load_dwordx2 v[38:39], v[28:29] offset:104
.LBB4_16:
	s_or_b64 exec, exec, s[4:5]
	v_cmp_gt_i32_e64 s[4:5], s6, v44
	v_pk_mov_b32 v[50:51], v[12:13], v[12:13] op_sel:[0,1]
                                        ; implicit-def: $vgpr52_vgpr53
	s_and_saveexec_b64 s[6:7], s[4:5]
	s_cbranch_execz .LBB4_18
; %bb.17:
	flat_load_dwordx2 v[50:51], v[22:23] offset:56
	s_waitcnt vmcnt(0) lgkmcnt(0)
	flat_load_dwordx2 v[52:53], v[50:51] glc
	s_waitcnt vmcnt(0)
	flat_load_dwordx4 v[12:15], v[22:23] offset:96
.LBB4_18:
	s_or_b64 exec, exec, s[6:7]
	v_cmp_ne_u64_e32 vcc, 0, v[26:27]
	v_pk_mov_b32 v[42:43], 0, 0
	s_and_saveexec_b64 s[26:27], vcc
	s_cbranch_execz .LBB4_852
; %bb.19:
	v_add_co_u32_e32 v0, vcc, v0, v24
	s_ashr_i32 s6, s8, 31
	v_addc_co_u32_e32 v1, vcc, v1, v25, vcc
	s_lshr_b32 s6, s6, 29
	v_add_co_u32_e32 v0, vcc, v0, v8
	s_ashr_i32 s23, s22, 31
	s_add_i32 s8, s8, s6
	v_accvgpr_write_b32 a22, v0
	v_addc_co_u32_e32 v0, vcc, v1, v4, vcc
	s_lshl_b64 s[6:7], s[22:23], 2
	v_accvgpr_read_b32 v2, a4
	v_accvgpr_write_b32 a23, v0
	v_mov_b32_e32 v0, s7
	v_accvgpr_read_b32 v3, a5
	v_add_co_u32_e32 v1, vcc, s6, v2
	v_addc_co_u32_e32 v0, vcc, v3, v0, vcc
	v_add_co_u32_e32 v2, vcc, -4, v1
	v_addc_co_u32_e32 v3, vcc, -1, v0, vcc
	v_and_b32_e32 v0, 63, v31
	v_ashrrev_i32_e32 v21, 31, v20
	v_cmp_eq_u32_e64 s[12:13], 0, v0
	v_lshrrev_b32_e32 v0, 26, v21
	v_accvgpr_write_b32 a25, v3
	v_add_u32_e32 v0, v20, v0
	v_accvgpr_write_b32 a24, v2
	v_ashrrev_i32_e32 v0, 6, v0
	v_accvgpr_read_b32 v2, a8
	v_accvgpr_write_b32 a26, v0
	v_ashrrev_i32_e32 v1, 31, v0
	v_lshlrev_b32_e32 v6, 3, v44
	v_accvgpr_read_b32 v4, a10
	v_and_b32_e32 v0, 1, v18
	v_accvgpr_write_b32 a27, v1
	v_ashrrev_i32_e32 v7, 31, v6
	v_accvgpr_read_b32 v5, a11
	v_add_co_u32_e32 v4, vcc, v4, v6
	v_cmp_eq_u32_e64 s[14:15], 1, v0
	s_waitcnt vmcnt(0) lgkmcnt(0)
	v_accvgpr_read_b32 v0, a20
	v_addc_co_u32_e32 v5, vcc, v5, v7, vcc
	v_accvgpr_read_b32 v1, a21
	v_accvgpr_read_b32 v3, a9
	v_cmp_ne_u64_e64 s[16:17], 0, v[0:1]
	v_add_co_u32_e32 v0, vcc, v2, v6
	v_accvgpr_write_b32 a32, v0
	v_addc_co_u32_e32 v0, vcc, v3, v7, vcc
	v_accvgpr_write_b32 a33, v0
	v_accvgpr_read_b32 v0, a6
	v_accvgpr_read_b32 v1, a7
	v_add_co_u32_e32 v0, vcc, v4, v0
	v_addc_co_u32_e32 v1, vcc, v5, v1, vcc
	v_accvgpr_write_b32 a35, v1
	v_ashrrev_i32_e32 v45, 31, v44
	v_accvgpr_write_b32 a12, v22
	s_ashr_i32 s10, s8, 3
	v_accvgpr_write_b32 a34, v0
	v_lshlrev_b64 v[0:1], 4, v[44:45]
	v_accvgpr_read_b32 v2, a18
	v_accvgpr_write_b32 a13, v23
	v_and_b32_e32 v54, 0x1fffff0, v10
	v_mov_b32_e32 v23, 0
	s_ashr_i32 s60, s8, 7
	s_and_b32 s23, s10, -16
	v_accvgpr_read_b32 v3, a19
	v_add_co_u32_e32 v0, vcc, v2, v0
	v_accvgpr_write_b32 a14, v28
	v_mov_b32_e32 v55, v23
	v_accvgpr_write_b32 a1, v9
	v_cmp_ne_u32_sdwa s[30:31], v9, v20 src0_sel:WORD_0 src1_sel:DWORD
	v_lshlrev_b32_e32 v56, 3, v20
	s_cmp_gt_i32 s22, 2
	v_accvgpr_write_b32 a37, v0
	v_addc_co_u32_e32 v0, vcc, v3, v1, vcc
	v_pk_mov_b32 v[8:9], 0, 0
	v_accvgpr_write_b32 a2, v26
	v_accvgpr_write_b32 a8, v54
	;; [unrolled: 1-line block ×3, first 2 shown]
	s_mov_b64 s[28:29], 0
	v_cmp_ne_u64_e64 s[6:7], 0, v[50:51]
	v_cmp_ne_u64_e64 s[8:9], 0, v[12:13]
	v_cmp_ne_u32_e64 s[10:11], 64, v20
	v_accvgpr_write_b32 a0, v31
	s_cselect_b64 s[34:35], -1, 0
	v_accvgpr_write_b32 a28, v6
	v_accvgpr_write_b32 a29, v7
	;; [unrolled: 1-line block ×4, first 2 shown]
	v_lshlrev_b32_e32 v29, 6, v20
	v_accvgpr_write_b32 a38, v0
	s_movk_i32 s61, 0x2710
	s_mov_b64 s[36:37], 0x7ffffff8
	s_movk_i32 s62, 0xff
	s_movk_i32 s63, 0x80
	s_movk_i32 s64, 0x7f
	s_mov_b64 s[38:39], 0x7f800000
	s_mov_b64 s[40:41], 0x43e00001
	s_movk_i32 s65, 0x7a
	s_mov_b64 s[42:43], 0xffffff
	s_mov_b32 s66, 0xffffff
	s_mov_b32 s67, 0xc0c0500
	;; [unrolled: 1-line block ×5, first 2 shown]
	v_bfrev_b32_e32 v46, 60
	v_mov_b32_e32 v47, 0xffffff82
	v_mov_b32_e32 v30, 0x78
	;; [unrolled: 1-line block ×4, first 2 shown]
	v_ashrrev_i32_e32 v45, 31, v56
	v_lshlrev_b64 v[58:59], 4, v[20:21]
	v_pk_mov_b32 v[42:43], v[8:9], v[8:9] op_sel:[0,1]
	v_accvgpr_write_b32 a3, v27
	v_accvgpr_write_b32 a9, v55
	s_branch .LBB4_21
.LBB4_20:                               ;   in Loop: Header=BB4_21 Depth=1
	s_or_b64 exec, exec, s[18:19]
	v_add_co_u32_e32 v34, vcc, 1, v34
	v_addc_co_u32_e32 v35, vcc, 0, v35, vcc
	v_add_co_u32_e32 v8, vcc, v8, v54
	v_addc_co_u32_e32 v9, vcc, 0, v9, vcc
	v_cmp_ge_u64_e32 vcc, v[8:9], v[26:27]
	v_accvgpr_read_b32 v0, a34
	s_or_b64 s[28:29], vcc, s[28:29]
	v_accvgpr_read_b32 v1, a35
	v_add_co_u32_e32 v0, vcc, v0, v54
	v_addc_co_u32_e32 v1, vcc, 0, v1, vcc
	v_accvgpr_write_b32 a35, v1
	v_accvgpr_write_b32 a34, v0
	s_andn2_b64 exec, exec, s[28:29]
	s_cbranch_execz .LBB4_851
.LBB4_21:                               ; =>This Loop Header: Depth=1
                                        ;     Child Loop BB4_28 Depth 2
                                        ;     Child Loop BB4_45 Depth 2
	;; [unrolled: 1-line block ×5, first 2 shown]
                                        ;       Child Loop BB4_85 Depth 3
                                        ;       Child Loop BB4_101 Depth 3
	;; [unrolled: 1-line block ×3, first 2 shown]
                                        ;         Child Loop BB4_122 Depth 4
                                        ;       Child Loop BB4_458 Depth 3
                                        ;       Child Loop BB4_78 Depth 3
                                        ;     Child Loop BB4_475 Depth 2
                                        ;       Child Loop BB4_483 Depth 3
                                        ;     Child Loop BB4_838 Depth 2
	v_accvgpr_read_b32 v0, a24
	v_accvgpr_read_b32 v1, a25
	s_waitcnt vmcnt(0) lgkmcnt(0)
	flat_load_dword v2, v[0:1]
	v_sub_co_u32_e32 v0, vcc, v26, v8
	v_subb_co_u32_e32 v1, vcc, v27, v9, vcc
	v_cmp_lt_u64_e32 vcc, v[54:55], v[0:1]
	v_cndmask_b32_e32 v3, v0, v54, vcc
	v_lshl_add_u32 v0, v3, 1, 14
	v_and_b32_e32 v0, 0x7fffff0, v0
	v_accvgpr_write_b32 a39, v0
	s_mov_b64 s[18:19], exec
	v_accvgpr_write_b32 a41, v9
	s_and_b64 s[20:21], s[18:19], s[6:7]
	v_accvgpr_write_b32 a40, v8
	s_mov_b64 exec, s[20:21]
	s_cbranch_execz .LBB4_37
; %bb.22:                               ;   in Loop: Header=BB4_21 Depth=1
	v_add_co_u32_e32 v0, vcc, 1, v14
	v_addc_co_u32_e32 v1, vcc, 0, v15, vcc
	v_add_co_u32_e32 v4, vcc, 8, v52
	v_addc_co_u32_e32 v5, vcc, 0, v53, vcc
	v_cmp_lt_u64_e32 vcc, v[4:5], v[0:1]
	s_and_saveexec_b64 s[20:21], vcc
	s_cbranch_execz .LBB4_34
; %bb.23:                               ;   in Loop: Header=BB4_21 Depth=1
	s_sleep 1
	flat_load_dwordx2 v[52:53], v[50:51] glc
	v_cmp_eq_u32_e32 vcc, 0, v7
	s_and_saveexec_b64 s[44:45], vcc
	s_cbranch_execz .LBB4_33
; %bb.24:                               ;   in Loop: Header=BB4_21 Depth=1
	v_cndmask_b32_e64 v4, 0, 1, vcc
	s_mov_b64 s[46:47], 0
                                        ; implicit-def: $sgpr48_sgpr49
	s_branch .LBB4_28
.LBB4_25:                               ;   in Loop: Header=BB4_28 Depth=2
	s_or_b64 exec, exec, s[56:57]
	s_orn2_b64 s[54:55], s[54:55], exec
.LBB4_26:                               ;   in Loop: Header=BB4_28 Depth=2
	s_or_b64 exec, exec, s[52:53]
	s_xor_b64 vcc, s[54:55], -1
	s_andn2_b64 s[48:49], s[48:49], exec
	s_and_b64 vcc, vcc, exec
	s_or_b64 s[48:49], s[48:49], vcc
.LBB4_27:                               ;   in Loop: Header=BB4_28 Depth=2
	s_or_b64 exec, exec, s[50:51]
	s_and_b64 vcc, exec, s[48:49]
	s_or_b64 s[46:47], vcc, s[46:47]
	s_andn2_b64 exec, exec, s[46:47]
	s_cbranch_execz .LBB4_32
.LBB4_28:                               ;   Parent Loop BB4_21 Depth=1
                                        ; =>  This Inner Loop Header: Depth=2
	s_waitcnt vmcnt(0) lgkmcnt(0)
	v_add_co_u32_e32 v8, vcc, 8, v52
	v_addc_co_u32_e32 v9, vcc, 0, v53, vcc
	v_cmp_lt_u64_e32 vcc, v[8:9], v[0:1]
	v_mov_b32_e32 v7, 0
	s_or_b64 s[48:49], s[48:49], exec
	s_and_saveexec_b64 s[50:51], vcc
	s_cbranch_execz .LBB4_27
; %bb.29:                               ;   in Loop: Header=BB4_28 Depth=2
	s_sleep 1
	flat_load_dwordx2 v[52:53], v[50:51] glc
	v_add_u32_e32 v4, 1, v4
	v_cmp_eq_u32_e32 vcc, s61, v4
	s_mov_b64 s[54:55], -1
	v_mov_b32_e32 v7, 0
	s_and_saveexec_b64 s[52:53], vcc
	s_cbranch_execz .LBB4_26
; %bb.30:                               ;   in Loop: Header=BB4_28 Depth=2
	s_trap 2
	ds_read_b64 v[4:5], v0
	v_mov_b32_e32 v7, 0
	s_waitcnt vmcnt(0) lgkmcnt(0)
	flat_load_dword v5, v[4:5] glc
	s_waitcnt vmcnt(0) lgkmcnt(0)
	buffer_invl2
	buffer_wbinvl1_vol
	v_mov_b32_e32 v4, 0
	v_cmp_ne_u32_e32 vcc, 0, v5
	s_and_saveexec_b64 s[56:57], vcc
	s_cbranch_execz .LBB4_25
; %bb.31:                               ;   in Loop: Header=BB4_28 Depth=2
	v_mov_b32_e32 v7, 1
	s_xor_b64 s[54:55], exec, -1
	ds_write_b32 v0, v5
	s_trap 2
	s_branch .LBB4_25
.LBB4_32:                               ;   in Loop: Header=BB4_21 Depth=1
	s_or_b64 exec, exec, s[46:47]
	v_accvgpr_read_b32 v8, a40
	v_accvgpr_read_b32 v9, a41
.LBB4_33:                               ;   in Loop: Header=BB4_21 Depth=1
	s_or_b64 exec, exec, s[44:45]
.LBB4_34:                               ;   in Loop: Header=BB4_21 Depth=1
	s_or_b64 exec, exec, s[20:21]
	s_and_saveexec_b64 s[20:21], s[8:9]
	s_cbranch_execz .LBB4_36
; %bb.35:                               ;   in Loop: Header=BB4_21 Depth=1
	v_and_b32_e32 v22, 0x7ffffff8, v14
	v_mov_b32_e32 v4, s23
	v_cmp_eq_u64_e32 vcc, s[36:37], v[22:23]
	v_accvgpr_read_b32 v5, a39
	v_cndmask_b32_e32 v4, v5, v4, vcc
	v_and_b32_e32 v8, 7, v14
	v_ashrrev_i32_e32 v5, 31, v4
	v_mad_u64_u32 v[8:9], vcc, v8, 24, v[12:13]
	flat_store_dwordx2 v[8:9], v[4:5] offset:8
	s_waitcnt vmcnt(0)
	v_accvgpr_read_b32 v8, a40
	v_accvgpr_read_b32 v9, a41
.LBB4_36:                               ;   in Loop: Header=BB4_21 Depth=1
	s_or_b64 exec, exec, s[20:21]
	v_pk_mov_b32 v[14:15], v[0:1], v[0:1] op_sel:[0,1]
.LBB4_37:                               ;   in Loop: Header=BB4_21 Depth=1
	s_or_b64 exec, exec, s[18:19]
	s_and_saveexec_b64 s[18:19], s[10:11]
	s_cbranch_execz .LBB4_56
; %bb.38:                               ;   in Loop: Header=BB4_21 Depth=1
	s_and_saveexec_b64 s[20:21], s[30:31]
	s_xor_b64 s[20:21], exec, s[20:21]
	s_cbranch_execz .LBB4_53
; %bb.39:                               ;   in Loop: Header=BB4_21 Depth=1
	s_and_saveexec_b64 s[44:45], s[12:13]
	s_cbranch_execz .LBB4_52
; %bb.40:                               ;   in Loop: Header=BB4_21 Depth=1
	s_mov_b64 s[48:49], exec
	v_mbcnt_lo_u32_b32 v0, s48, 0
	v_mbcnt_hi_u32_b32 v0, s49, v0
	v_cmp_eq_u32_e32 vcc, 0, v0
	s_waitcnt vmcnt(0) lgkmcnt(0)
	buffer_wbinvl1_vol
	s_and_saveexec_b64 s[46:47], vcc
	s_cbranch_execz .LBB4_42
; %bb.41:                               ;   in Loop: Header=BB4_21 Depth=1
	s_bcnt1_i32_b64 vcc_lo, s[48:49]
	v_mov_b32_e32 v22, vcc_lo
	ds_add_u64 v0, v[22:23]
	s_trap 2
.LBB4_42:                               ;   in Loop: Header=BB4_21 Depth=1
	s_or_b64 exec, exec, s[46:47]
	s_trap 2
	ds_read_b64 v[0:1], v0
	v_accvgpr_read_b32 v4, a26
	v_add_co_u32_e32 v42, vcc, v42, v4
	v_accvgpr_read_b32 v5, a27
	v_addc_co_u32_e32 v43, vcc, v43, v5, vcc
	s_waitcnt lgkmcnt(0)
	v_cmp_lt_u64_e32 vcc, v[0:1], v[42:43]
	s_and_saveexec_b64 s[46:47], vcc
	s_cbranch_execz .LBB4_51
; %bb.43:                               ;   in Loop: Header=BB4_21 Depth=1
	s_mov_b32 s58, 0
	s_mov_b64 s[48:49], 0
                                        ; implicit-def: $sgpr50_sgpr51
                                        ; implicit-def: $sgpr52_sgpr53
	s_branch .LBB4_45
.LBB4_44:                               ;   in Loop: Header=BB4_45 Depth=2
	s_or_b64 exec, exec, s[56:57]
	s_and_b64 vcc, exec, vcc
	s_or_b64 s[48:49], vcc, s[48:49]
	s_andn2_b64 vcc, s[50:51], exec
	s_and_b64 s[50:51], s[52:53], exec
	s_or_b64 s[50:51], vcc, s[50:51]
	s_andn2_b64 exec, exec, s[48:49]
	s_cbranch_execz .LBB4_49
.LBB4_45:                               ;   Parent Loop BB4_21 Depth=1
                                        ; =>  This Inner Loop Header: Depth=2
	s_add_i32 s58, s58, 1
	s_cmpk_lg_i32 s58, 0x2710
	s_cselect_b64 s[54:55], -1, 0
	s_and_b64 vcc, exec, s[54:55]
                                        ; implicit-def: $sgpr56_sgpr57
	s_cbranch_vccnz .LBB4_47
; %bb.46:                               ;   in Loop: Header=BB4_45 Depth=2
	s_trap 2
	ds_read_b64 v[0:1], v0
	s_andn2_b64 s[54:55], s[54:55], exec
	s_mov_b32 s58, 0
	s_mov_b64 s[56:57], -1
	s_waitcnt lgkmcnt(0)
	flat_load_dword v0, v[0:1] glc
	s_waitcnt vmcnt(0) lgkmcnt(0)
	buffer_invl2
	buffer_wbinvl1_vol
	v_cmp_eq_u32_e32 vcc, 0, v0
	s_and_b64 vcc, vcc, exec
	s_or_b64 s[54:55], s[54:55], vcc
.LBB4_47:                               ;   in Loop: Header=BB4_45 Depth=2
	s_andn2_b64 s[52:53], s[52:53], exec
	s_and_b64 s[56:57], s[56:57], exec
	s_mov_b64 vcc, -1
	s_or_b64 s[52:53], s[52:53], s[56:57]
	s_and_saveexec_b64 s[56:57], s[54:55]
	s_cbranch_execz .LBB4_44
; %bb.48:                               ;   in Loop: Header=BB4_45 Depth=2
	s_sleep 1
	s_trap 2
	ds_read_b64 v[0:1], v0
	s_andn2_b64 s[52:53], s[52:53], exec
	s_waitcnt lgkmcnt(0)
	v_cmp_ge_u64_e32 vcc, v[0:1], v[42:43]
	s_orn2_b64 vcc, vcc, exec
	s_branch .LBB4_44
.LBB4_49:                               ;   in Loop: Header=BB4_21 Depth=1
	s_or_b64 exec, exec, s[48:49]
	s_and_saveexec_b64 vcc, s[50:51]
	s_xor_b64 vcc, exec, vcc
	s_cbranch_execz .LBB4_51
; %bb.50:                               ;   in Loop: Header=BB4_21 Depth=1
	v_mov_b32_e32 v0, 1
	ds_write_b32 v0, v0
	s_trap 2
.LBB4_51:                               ;   in Loop: Header=BB4_21 Depth=1
	s_or_b64 exec, exec, s[46:47]
	;;#ASMSTART
	s_wakeup
	;;#ASMEND
.LBB4_52:                               ;   in Loop: Header=BB4_21 Depth=1
	s_or_b64 exec, exec, s[44:45]
.LBB4_53:                               ;   in Loop: Header=BB4_21 Depth=1
	s_andn2_saveexec_b64 s[20:21], s[20:21]
	s_cbranch_execz .LBB4_55
; %bb.54:                               ;   in Loop: Header=BB4_21 Depth=1
	s_waitcnt vmcnt(0) lgkmcnt(0)
	buffer_wbinvl1_vol
	s_barrier
.LBB4_55:                               ;   in Loop: Header=BB4_21 Depth=1
	s_or_b64 exec, exec, s[20:21]
.LBB4_56:                               ;   in Loop: Header=BB4_21 Depth=1
	s_or_b64 exec, exec, s[18:19]
	v_accvgpr_read_b32 v0, a28
	v_sub_u32_e32 v21, v3, v0
	v_cmp_lt_i32_e64 s[18:19], 0, v21
	v_and_b32_e32 v1, 7, v16
	v_mov_b32_e32 v0, v44
	s_and_saveexec_b64 s[20:21], s[18:19]
	s_cbranch_execz .LBB4_64
; %bb.57:                               ;   in Loop: Header=BB4_21 Depth=1
	v_accvgpr_read_b32 v24, a34
	s_waitcnt vmcnt(0) lgkmcnt(0)
	v_ashrrev_i32_e32 v0, 31, v2
	v_mov_b32_e32 v3, v16
	v_add_co_u32_e64 v8, vcc, 0, 0
	v_accvgpr_read_b32 v18, a22
	v_accvgpr_read_b32 v25, a35
	v_accvgpr_read_b32 v9, a23
	v_mul_lo_u32 v4, v1, s60
	v_addc_co_u32_e32 v3, vcc, 1, v3, vcc
	v_mad_u64_u32 v[10:11], vcc, v18, v2, v[24:25]
	v_mul_lo_u32 v9, v9, v2
	v_mul_lo_u32 v0, v18, v0
	v_ashrrev_i32_e32 v5, 31, v4
	v_add3_u32 v11, v9, v11, v0
	v_mul_lo_u32 v0, v18, v2
	v_add_lshl_u32 v9, v24, v0, 3
	v_lshlrev_b64 v[4:5], 4, v[4:5]
	v_accvgpr_read_b32 v0, a37
	v_add_co_u32_e32 v18, vcc, v0, v4
	v_accvgpr_read_b32 v0, a38
	v_addc_co_u32_e32 v19, vcc, v0, v5, vcc
	s_mov_b64 s[44:45], 0
	v_mov_b32_e32 v26, v21
	v_mov_b32_e32 v0, v44
	s_branch .LBB4_59
.LBB4_58:                               ;   in Loop: Header=BB4_59 Depth=2
	s_or_b64 exec, exec, s[46:47]
	v_add_co_u32_e32 v10, vcc, v10, v56
	s_waitcnt vmcnt(0)
	v_alignbit_b32 v2, v28, v2, v9
	v_alignbit_b32 v4, v27, v28, v9
	v_sub_u32_e32 v26, v26, v56
	v_addc_co_u32_e32 v11, vcc, v11, v45, vcc
	v_or_b32_e32 v2, v8, v2
	v_or_b32_e32 v4, v8, v4
	v_mov_b32_e32 v5, v3
	v_cmp_gt_i32_e32 vcc, 1, v26
	global_store_dwordx4 v[18:19], v[2:5], off
	s_or_b64 s[44:45], vcc, s[44:45]
	v_add_co_u32_e32 v18, vcc, v18, v58
	v_add_u32_e32 v0, v0, v20
	v_add_u32_e32 v9, v9, v29
	v_addc_co_u32_e32 v19, vcc, v19, v59, vcc
	s_andn2_b64 exec, exec, s[44:45]
	s_cbranch_execz .LBB4_63
.LBB4_59:                               ;   Parent Loop BB4_21 Depth=1
                                        ; =>  This Inner Loop Header: Depth=2
	v_and_b32_e32 v4, -4, v10
	v_mov_b32_e32 v5, v11
	global_load_dword v2, v[4:5], off glc slc
	v_min_u32_e32 v22, 8, v26
	v_and_b32_e32 v24, 3, v10
	v_add_co_u32_e32 v24, vcc, v24, v22
	v_addc_co_u32_e64 v25, vcc, 0, 0, vcc
	v_mov_b32_e32 v27, 0
	v_cmp_lt_u64_e32 vcc, 4, v[24:25]
	v_mov_b32_e32 v28, 0
	s_and_saveexec_b64 s[46:47], vcc
	s_cbranch_execz .LBB4_61
; %bb.60:                               ;   in Loop: Header=BB4_59 Depth=2
	global_load_dword v28, v[4:5], off offset:4 glc slc
.LBB4_61:                               ;   in Loop: Header=BB4_59 Depth=2
	s_or_b64 exec, exec, s[46:47]
	v_cmp_lt_u64_e32 vcc, 8, v[24:25]
	s_and_saveexec_b64 s[46:47], vcc
	s_cbranch_execz .LBB4_58
; %bb.62:                               ;   in Loop: Header=BB4_59 Depth=2
	global_load_dword v27, v[4:5], off offset:8 glc slc
	s_branch .LBB4_58
.LBB4_63:                               ;   in Loop: Header=BB4_21 Depth=1
	s_or_b64 exec, exec, s[44:45]
	v_accvgpr_read_b32 v8, a40
	v_accvgpr_read_b32 v9, a41
.LBB4_64:                               ;   in Loop: Header=BB4_21 Depth=1
	s_or_b64 exec, exec, s[20:21]
	v_and_b32_e32 v22, 0x7ffffff8, v16
	v_cmp_eq_u64_e32 vcc, s[36:37], v[22:23]
	v_cmp_gt_i32_e64 s[20:21], s60, v0
	s_and_b64 s[20:21], vcc, s[20:21]
	s_and_saveexec_b64 s[44:45], s[20:21]
	s_cbranch_execz .LBB4_67
; %bb.65:                               ;   in Loop: Header=BB4_21 Depth=1
	v_mul_lo_u32 v4, v1, s60
	v_mov_b32_e32 v1, v16
	s_waitcnt vmcnt(0) lgkmcnt(0)
	v_add_co_u32_e64 v2, vcc, 0, 0
	v_ashrrev_i32_e32 v5, 31, v4
	v_addc_co_u32_e32 v3, vcc, 1, v1, vcc
	v_ashrrev_i32_e32 v1, 31, v0
	v_lshlrev_b64 v[8:9], 4, v[0:1]
	v_lshlrev_b64 v[4:5], 4, v[4:5]
	v_add_co_u32_e32 v1, vcc, v8, v4
	v_addc_co_u32_e32 v4, vcc, v9, v5, vcc
	v_accvgpr_read_b32 v8, a18
	v_accvgpr_read_b32 v9, a19
	v_add_co_u32_e32 v10, vcc, v8, v1
	v_addc_co_u32_e32 v11, vcc, v9, v4, vcc
	v_accvgpr_read_b32 v8, a40
	v_accvgpr_read_b32 v9, a41
	s_mov_b64 s[46:47], 0
.LBB4_66:                               ;   Parent Loop BB4_21 Depth=1
                                        ; =>  This Inner Loop Header: Depth=2
	v_mov_b32_e32 v4, v2
	v_mov_b32_e32 v5, v3
	v_add_u32_e32 v0, v0, v20
	global_store_dwordx4 v[10:11], v[2:5], off
	v_cmp_le_i32_e32 vcc, s60, v0
	v_add_co_u32_e64 v10, s[20:21], v10, v58
	s_or_b64 s[46:47], vcc, s[46:47]
	v_addc_co_u32_e64 v11, vcc, v11, v59, s[20:21]
	s_andn2_b64 exec, exec, s[46:47]
	s_cbranch_execnz .LBB4_66
.LBB4_67:                               ;   in Loop: Header=BB4_21 Depth=1
	s_or_b64 exec, exec, s[44:45]
	v_accvgpr_read_b32 v0, a6
	v_accvgpr_read_b32 v1, a7
	s_waitcnt vmcnt(0) lgkmcnt(0)
	v_add_co_u32_e32 v2, vcc, v8, v0
	v_addc_co_u32_e32 v1, vcc, v9, v1, vcc
	v_add_co_u32_e64 v28, s[20:21], 1, v16
	v_accvgpr_write_b32 a36, v29
	s_andn2_b64 vcc, exec, s[34:35]
	v_addc_co_u32_e64 v29, s[20:21], 0, v17, s[20:21]
	s_cbranch_vccnz .LBB4_469
; %bb.68:                               ;   in Loop: Header=BB4_21 Depth=1
	v_accvgpr_read_b32 v0, a30
	v_accvgpr_write_b32 a42, v2
	v_add_co_u32_e32 v2, vcc, v0, v2
	v_accvgpr_read_b32 v0, a31
	v_addc_co_u32_e32 v3, vcc, v0, v1, vcc
	v_accvgpr_write_b32 a45, v3
	v_accvgpr_write_b32 a43, v1
	;; [unrolled: 1-line block ×3, first 2 shown]
	v_add_u16_e32 v54, 1, v16
	s_mov_b32 s71, 2
	s_branch .LBB4_70
.LBB4_69:                               ;   in Loop: Header=BB4_70 Depth=2
	s_or_b64 exec, exec, s[44:45]
	v_add_co_u32_e32 v34, vcc, 1, v34
	v_addc_co_u32_e32 v35, vcc, 0, v35, vcc
	s_add_i32 s71, s71, 1
	v_add_co_u32_e32 v28, vcc, 1, v28
	v_addc_co_u32_e32 v29, vcc, 0, v29, vcc
	s_cmp_eq_u32 s71, s22
	v_add_u16_e32 v54, 1, v54
	s_cbranch_scc1 .LBB4_470
.LBB4_70:                               ;   Parent Loop BB4_21 Depth=1
                                        ; =>  This Loop Header: Depth=2
                                        ;       Child Loop BB4_85 Depth 3
                                        ;       Child Loop BB4_101 Depth 3
	;; [unrolled: 1-line block ×3, first 2 shown]
                                        ;         Child Loop BB4_122 Depth 4
                                        ;       Child Loop BB4_458 Depth 3
                                        ;       Child Loop BB4_78 Depth 3
	s_sub_i32 s20, s22, s71
	s_ashr_i32 s21, s20, 31
	s_lshl_b64 s[20:21], s[20:21], 2
	s_waitcnt vmcnt(0) lgkmcnt(0)
	v_accvgpr_read_b32 v2, a4
	v_mov_b32_e32 v1, s21
	v_accvgpr_read_b32 v3, a5
	v_add_co_u32_e32 v0, vcc, s20, v2
	v_addc_co_u32_e32 v1, vcc, v3, v1, vcc
	flat_load_dword v2, v[0:1]
	s_and_saveexec_b64 s[20:21], s[6:7]
	s_cbranch_execnz .LBB4_79
; %bb.71:                               ;   in Loop: Header=BB4_70 Depth=2
	s_or_b64 exec, exec, s[20:21]
	s_and_saveexec_b64 s[20:21], s[10:11]
	s_cbranch_execnz .LBB4_94
.LBB4_72:                               ;   in Loop: Header=BB4_70 Depth=2
	s_or_b64 exec, exec, s[20:21]
	v_mov_b32_e32 v0, v44
	s_and_saveexec_b64 s[44:45], s[18:19]
	s_cbranch_execnz .LBB4_112
.LBB4_73:                               ;   in Loop: Header=BB4_70 Depth=2
	s_or_b64 exec, exec, s[44:45]
	s_and_saveexec_b64 s[20:21], s[10:11]
	s_cbranch_execnz .LBB4_451
.LBB4_74:                               ;   in Loop: Header=BB4_70 Depth=2
	s_or_b64 exec, exec, s[20:21]
	s_and_saveexec_b64 s[20:21], s[16:17]
	s_cbranch_execz .LBB4_76
.LBB4_75:                               ;   in Loop: Header=BB4_70 Depth=2
	v_add_co_u32_e32 v38, vcc, 1, v38
	s_waitcnt vmcnt(0) lgkmcnt(0)
	v_accvgpr_read_b32 v2, a20
	v_addc_co_u32_e32 v39, vcc, 0, v39, vcc
	v_accvgpr_read_b32 v3, a21
	flat_store_dwordx2 v[2:3], v[38:39]
.LBB4_76:                               ;   in Loop: Header=BB4_70 Depth=2
	s_or_b64 exec, exec, s[20:21]
	v_and_b32_e32 v22, 0x7ffffff8, v28
	v_cmp_eq_u64_e32 vcc, s[36:37], v[22:23]
	v_cmp_gt_i32_e64 s[20:21], s60, v0
	s_and_b64 s[20:21], vcc, s[20:21]
	s_and_saveexec_b64 s[44:45], s[20:21]
	s_cbranch_execz .LBB4_69
; %bb.77:                               ;   in Loop: Header=BB4_70 Depth=2
	v_and_b32_e32 v1, 7, v54
	s_waitcnt vmcnt(0) lgkmcnt(0)
	v_mul_lo_u32 v2, s60, v1
	v_ashrrev_i32_e32 v3, 31, v2
	v_lshlrev_b64 v[4:5], 4, v[2:3]
	v_mov_b32_e32 v1, v28
	v_add_co_u32_e64 v2, vcc, 0, 0
	v_addc_co_u32_e32 v3, vcc, 1, v1, vcc
	v_ashrrev_i32_e32 v1, 31, v0
	v_lshlrev_b64 v[8:9], 4, v[0:1]
	v_add_co_u32_e32 v1, vcc, v8, v4
	v_addc_co_u32_e32 v4, vcc, v9, v5, vcc
	v_accvgpr_read_b32 v8, a18
	v_accvgpr_read_b32 v9, a19
	v_add_co_u32_e32 v10, vcc, v8, v1
	v_addc_co_u32_e32 v11, vcc, v9, v4, vcc
	v_accvgpr_read_b32 v8, a40
	v_accvgpr_read_b32 v9, a41
	s_mov_b64 s[46:47], 0
.LBB4_78:                               ;   Parent Loop BB4_21 Depth=1
                                        ;     Parent Loop BB4_70 Depth=2
                                        ; =>    This Inner Loop Header: Depth=3
	v_mov_b32_e32 v4, v2
	v_mov_b32_e32 v5, v3
	v_add_u32_e32 v0, v0, v20
	global_store_dwordx4 v[10:11], v[2:5], off
	v_cmp_le_i32_e32 vcc, s60, v0
	v_add_co_u32_e64 v10, s[20:21], v10, v58
	s_or_b64 s[46:47], vcc, s[46:47]
	v_addc_co_u32_e64 v11, vcc, v11, v59, s[20:21]
	s_andn2_b64 exec, exec, s[46:47]
	s_cbranch_execnz .LBB4_78
	s_branch .LBB4_69
.LBB4_79:                               ;   in Loop: Header=BB4_70 Depth=2
	v_add_co_u32_e32 v0, vcc, 1, v14
	v_addc_co_u32_e32 v1, vcc, 0, v15, vcc
	v_add_co_u32_e32 v4, vcc, 8, v52
	v_addc_co_u32_e32 v5, vcc, 0, v53, vcc
	v_cmp_lt_u64_e32 vcc, v[4:5], v[0:1]
	s_and_saveexec_b64 s[44:45], vcc
	s_cbranch_execz .LBB4_91
; %bb.80:                               ;   in Loop: Header=BB4_70 Depth=2
	s_sleep 1
	flat_load_dwordx2 v[52:53], v[50:51] glc
	v_cmp_eq_u32_e32 vcc, 0, v7
	s_and_saveexec_b64 s[46:47], vcc
	s_cbranch_execz .LBB4_90
; %bb.81:                               ;   in Loop: Header=BB4_70 Depth=2
	v_cndmask_b32_e64 v3, 0, 1, vcc
	s_mov_b64 s[48:49], 0
                                        ; implicit-def: $sgpr50_sgpr51
	s_branch .LBB4_85
.LBB4_82:                               ;   in Loop: Header=BB4_85 Depth=3
	s_or_b64 exec, exec, s[58:59]
	s_orn2_b64 s[56:57], s[56:57], exec
.LBB4_83:                               ;   in Loop: Header=BB4_85 Depth=3
	s_or_b64 exec, exec, s[54:55]
	s_xor_b64 vcc, s[56:57], -1
	s_andn2_b64 s[50:51], s[50:51], exec
	s_and_b64 vcc, vcc, exec
	s_or_b64 s[50:51], s[50:51], vcc
.LBB4_84:                               ;   in Loop: Header=BB4_85 Depth=3
	s_or_b64 exec, exec, s[52:53]
	s_and_b64 vcc, exec, s[50:51]
	s_or_b64 s[48:49], vcc, s[48:49]
	s_andn2_b64 exec, exec, s[48:49]
	s_cbranch_execz .LBB4_89
.LBB4_85:                               ;   Parent Loop BB4_21 Depth=1
                                        ;     Parent Loop BB4_70 Depth=2
                                        ; =>    This Inner Loop Header: Depth=3
	s_waitcnt vmcnt(0) lgkmcnt(0)
	v_add_co_u32_e32 v4, vcc, 8, v52
	v_addc_co_u32_e32 v5, vcc, 0, v53, vcc
	v_cmp_lt_u64_e32 vcc, v[4:5], v[0:1]
	v_mov_b32_e32 v7, 0
	s_or_b64 s[50:51], s[50:51], exec
	s_and_saveexec_b64 s[52:53], vcc
	s_cbranch_execz .LBB4_84
; %bb.86:                               ;   in Loop: Header=BB4_85 Depth=3
	s_sleep 1
	flat_load_dwordx2 v[52:53], v[50:51] glc
	v_add_u32_e32 v3, 1, v3
	v_cmp_eq_u32_e32 vcc, s61, v3
	s_mov_b64 s[56:57], -1
	v_mov_b32_e32 v7, 0
	s_and_saveexec_b64 s[54:55], vcc
	s_cbranch_execz .LBB4_83
; %bb.87:                               ;   in Loop: Header=BB4_85 Depth=3
	s_trap 2
	ds_read_b64 v[4:5], v0
	v_mov_b32_e32 v3, 0
	v_mov_b32_e32 v7, 0
	s_waitcnt vmcnt(0) lgkmcnt(0)
	flat_load_dword v4, v[4:5] glc
	s_waitcnt vmcnt(0) lgkmcnt(0)
	buffer_invl2
	buffer_wbinvl1_vol
	v_cmp_ne_u32_e32 vcc, 0, v4
	s_and_saveexec_b64 s[58:59], vcc
	s_cbranch_execz .LBB4_82
; %bb.88:                               ;   in Loop: Header=BB4_85 Depth=3
	v_mov_b32_e32 v7, 1
	s_xor_b64 s[56:57], exec, -1
	ds_write_b32 v0, v4
	s_trap 2
	s_branch .LBB4_82
.LBB4_89:                               ;   in Loop: Header=BB4_70 Depth=2
	s_or_b64 exec, exec, s[48:49]
.LBB4_90:                               ;   in Loop: Header=BB4_70 Depth=2
	s_or_b64 exec, exec, s[46:47]
.LBB4_91:                               ;   in Loop: Header=BB4_70 Depth=2
	s_or_b64 exec, exec, s[44:45]
	s_and_saveexec_b64 s[44:45], s[8:9]
	s_cbranch_execz .LBB4_93
; %bb.92:                               ;   in Loop: Header=BB4_70 Depth=2
	v_and_b32_e32 v22, 0x7ffffff8, v14
	v_mov_b32_e32 v3, s23
	v_cmp_eq_u64_e32 vcc, s[36:37], v[22:23]
	v_accvgpr_read_b32 v4, a39
	v_cndmask_b32_e32 v4, v4, v3, vcc
	v_and_b32_e32 v3, 7, v14
	v_ashrrev_i32_e32 v5, 31, v4
	v_mad_u64_u32 v[8:9], vcc, v3, 24, v[12:13]
	flat_store_dwordx2 v[8:9], v[4:5] offset:8
	s_waitcnt vmcnt(0)
	v_accvgpr_read_b32 v8, a40
	v_accvgpr_read_b32 v9, a41
.LBB4_93:                               ;   in Loop: Header=BB4_70 Depth=2
	s_or_b64 exec, exec, s[44:45]
	v_pk_mov_b32 v[14:15], v[0:1], v[0:1] op_sel:[0,1]
	s_or_b64 exec, exec, s[20:21]
	s_and_saveexec_b64 s[20:21], s[10:11]
	s_cbranch_execz .LBB4_72
.LBB4_94:                               ;   in Loop: Header=BB4_70 Depth=2
	s_and_saveexec_b64 vcc, s[30:31]
	s_xor_b64 s[44:45], exec, vcc
	s_cbranch_execz .LBB4_109
; %bb.95:                               ;   in Loop: Header=BB4_70 Depth=2
	s_and_saveexec_b64 s[46:47], s[12:13]
	s_cbranch_execz .LBB4_108
; %bb.96:                               ;   in Loop: Header=BB4_70 Depth=2
	s_mov_b64 s[50:51], exec
	v_mbcnt_lo_u32_b32 v0, s50, 0
	v_mbcnt_hi_u32_b32 v0, s51, v0
	v_cmp_eq_u32_e32 vcc, 0, v0
	s_waitcnt vmcnt(0) lgkmcnt(0)
	buffer_wbinvl1_vol
	s_and_saveexec_b64 s[48:49], vcc
	s_cbranch_execz .LBB4_98
; %bb.97:                               ;   in Loop: Header=BB4_70 Depth=2
	s_bcnt1_i32_b64 vcc_lo, s[50:51]
	v_mov_b32_e32 v22, vcc_lo
	ds_add_u64 v0, v[22:23]
	s_trap 2
.LBB4_98:                               ;   in Loop: Header=BB4_70 Depth=2
	s_or_b64 exec, exec, s[48:49]
	s_trap 2
	ds_read_b64 v[0:1], v0
	v_accvgpr_read_b32 v4, a26
	v_add_co_u32_e32 v42, vcc, v42, v4
	v_accvgpr_read_b32 v3, a27
	v_addc_co_u32_e32 v43, vcc, v43, v3, vcc
	s_waitcnt lgkmcnt(0)
	v_cmp_lt_u64_e32 vcc, v[0:1], v[42:43]
	s_and_saveexec_b64 s[48:49], vcc
	s_cbranch_execz .LBB4_107
; %bb.99:                               ;   in Loop: Header=BB4_70 Depth=2
	s_mov_b32 s72, 0
	s_mov_b64 s[50:51], 0
                                        ; implicit-def: $sgpr52_sgpr53
                                        ; implicit-def: $sgpr54_sgpr55
	s_branch .LBB4_101
.LBB4_100:                              ;   in Loop: Header=BB4_101 Depth=3
	s_or_b64 exec, exec, s[58:59]
	s_and_b64 vcc, exec, vcc
	s_or_b64 s[50:51], vcc, s[50:51]
	s_andn2_b64 vcc, s[52:53], exec
	s_and_b64 s[52:53], s[54:55], exec
	s_or_b64 s[52:53], vcc, s[52:53]
	s_andn2_b64 exec, exec, s[50:51]
	s_cbranch_execz .LBB4_105
.LBB4_101:                              ;   Parent Loop BB4_21 Depth=1
                                        ;     Parent Loop BB4_70 Depth=2
                                        ; =>    This Inner Loop Header: Depth=3
	s_add_i32 s72, s72, 1
	s_cmpk_lg_i32 s72, 0x2710
	s_cselect_b64 s[56:57], -1, 0
	s_and_b64 vcc, exec, s[56:57]
                                        ; implicit-def: $sgpr58_sgpr59
	s_cbranch_vccnz .LBB4_103
; %bb.102:                              ;   in Loop: Header=BB4_101 Depth=3
	s_trap 2
	ds_read_b64 v[0:1], v0
	s_andn2_b64 s[56:57], s[56:57], exec
	s_mov_b32 s72, 0
	s_mov_b64 s[58:59], -1
	s_waitcnt lgkmcnt(0)
	flat_load_dword v0, v[0:1] glc
	s_waitcnt vmcnt(0) lgkmcnt(0)
	buffer_invl2
	buffer_wbinvl1_vol
	v_cmp_eq_u32_e32 vcc, 0, v0
	s_and_b64 vcc, vcc, exec
	s_or_b64 s[56:57], s[56:57], vcc
.LBB4_103:                              ;   in Loop: Header=BB4_101 Depth=3
	s_andn2_b64 s[54:55], s[54:55], exec
	s_and_b64 s[58:59], s[58:59], exec
	s_mov_b64 vcc, -1
	s_or_b64 s[54:55], s[54:55], s[58:59]
	s_and_saveexec_b64 s[58:59], s[56:57]
	s_cbranch_execz .LBB4_100
; %bb.104:                              ;   in Loop: Header=BB4_101 Depth=3
	s_sleep 1
	s_trap 2
	ds_read_b64 v[0:1], v0
	s_andn2_b64 s[54:55], s[54:55], exec
	s_waitcnt lgkmcnt(0)
	v_cmp_ge_u64_e32 vcc, v[0:1], v[42:43]
	s_orn2_b64 vcc, vcc, exec
	s_branch .LBB4_100
.LBB4_105:                              ;   in Loop: Header=BB4_70 Depth=2
	s_or_b64 exec, exec, s[50:51]
	s_and_saveexec_b64 vcc, s[52:53]
	s_xor_b64 vcc, exec, vcc
	s_cbranch_execz .LBB4_107
; %bb.106:                              ;   in Loop: Header=BB4_70 Depth=2
	v_mov_b32_e32 v0, 1
	ds_write_b32 v0, v0
	s_trap 2
.LBB4_107:                              ;   in Loop: Header=BB4_70 Depth=2
	s_or_b64 exec, exec, s[48:49]
	;;#ASMSTART
	s_wakeup
	;;#ASMEND
.LBB4_108:                              ;   in Loop: Header=BB4_70 Depth=2
	s_or_b64 exec, exec, s[46:47]
.LBB4_109:                              ;   in Loop: Header=BB4_70 Depth=2
	s_andn2_saveexec_b64 vcc, s[44:45]
	s_cbranch_execz .LBB4_111
; %bb.110:                              ;   in Loop: Header=BB4_70 Depth=2
	s_waitcnt vmcnt(0) lgkmcnt(0)
	buffer_wbinvl1_vol
	s_barrier
.LBB4_111:                              ;   in Loop: Header=BB4_70 Depth=2
	s_or_b64 exec, exec, vcc
	s_or_b64 exec, exec, s[20:21]
	v_mov_b32_e32 v0, v44
	s_and_saveexec_b64 s[44:45], s[18:19]
	s_cbranch_execz .LBB4_73
.LBB4_112:                              ;   in Loop: Header=BB4_70 Depth=2
	v_accvgpr_read_b32 v4, a44
	s_waitcnt vmcnt(0) lgkmcnt(0)
	v_ashrrev_i32_e32 v0, 31, v2
	v_accvgpr_read_b32 v3, a22
	v_accvgpr_read_b32 v5, a45
	;; [unrolled: 1-line block ×3, first 2 shown]
	v_mad_u64_u32 v[10:11], s[20:21], v3, v2, v[4:5]
	v_mul_lo_u32 v1, v1, v2
	v_mul_lo_u32 v0, v3, v0
	v_add3_u32 v11, v1, v11, v0
	v_and_b32_e32 v0, 7, v34
	v_mul_lo_u32 v0, v0, s60
	v_ashrrev_i32_e32 v1, 31, v0
	v_lshlrev_b64 v[0:1], 4, v[0:1]
	v_accvgpr_read_b32 v2, a16
	v_add_co_u32_e32 v55, vcc, v2, v0
	v_and_b32_e32 v0, 7, v28
	v_accvgpr_read_b32 v3, a17
	v_mul_lo_u32 v0, v0, s60
	v_addc_co_u32_e32 v57, vcc, v3, v1, vcc
	v_ashrrev_i32_e32 v1, 31, v0
	v_lshlrev_b64 v[0:1], 4, v[0:1]
	v_accvgpr_read_b32 v2, a18
	v_accvgpr_read_b32 v3, a19
	v_add_co_u32_e32 v49, vcc, v2, v0
	v_addc_co_u32_e32 v31, vcc, v3, v1, vcc
	v_mov_b32_e32 v1, v28
	v_add_co_u32_e64 v8, vcc, 0, 0
	v_add_u32_e32 v48, 1, v34
	v_addc_co_u32_e32 v3, vcc, 1, v1, vcc
	s_mov_b64 s[46:47], 0
	v_mov_b32_e32 v9, v21
	v_mov_b32_e32 v0, v44
	s_branch .LBB4_114
.LBB4_113:                              ;   in Loop: Header=BB4_114 Depth=3
	s_or_b64 exec, exec, s[20:21]
	v_lshlrev_b32_e32 v17, 8, v32
	v_add_co_u32_e32 v10, vcc, v10, v56
	v_perm_b32 v1, v17, v1, s67
	v_lshlrev_b32_e32 v17, 8, v60
	v_addc_co_u32_e32 v11, vcc, v11, v45, vcc
	v_lshlrev_b32_e32 v18, 24, v16
	v_perm_b32 v16, v17, v25, s67
	v_and_b32_e32 v2, 0xff, v33
	v_lshl_or_b32 v19, v61, 16, v16
	v_add_co_u32_e32 v16, vcc, v49, v4
	v_lshlrev_b32_e32 v2, 16, v2
	v_addc_co_u32_e32 v17, vcc, v31, v5, vcc
	v_sub_u32_e32 v9, v9, v56
	v_lshl_or_b32 v2, v24, 24, v2
	v_cmp_gt_i32_e32 vcc, 1, v9
	v_or3_b32 v2, v2, v1, v8
	v_or3_b32 v4, v18, v19, v8
	v_mov_b32_e32 v5, v3
	s_or_b64 s[46:47], vcc, s[46:47]
	v_add_u32_e32 v0, v0, v20
	global_store_dwordx4 v[16:17], v[2:5], off
	s_andn2_b64 exec, exec, s[46:47]
	s_cbranch_execz .LBB4_450
.LBB4_114:                              ;   Parent Loop BB4_21 Depth=1
                                        ;     Parent Loop BB4_70 Depth=2
                                        ; =>    This Loop Header: Depth=3
                                        ;         Child Loop BB4_122 Depth 4
	v_and_b32_e32 v4, -4, v10
	v_mov_b32_e32 v5, v11
	global_load_dword v2, v[4:5], off glc slc
	v_min_u32_e32 v1, 8, v9
	v_and_b32_e32 v16, 3, v10
	v_add_co_u32_e32 v16, vcc, v16, v1
	v_addc_co_u32_e64 v17, s[20:21], 0, 0, vcc
	v_mov_b32_e32 v60, 0
	v_cmp_lt_u64_e32 vcc, 4, v[16:17]
	v_mov_b32_e32 v61, 0
	s_and_saveexec_b64 s[20:21], vcc
	s_cbranch_execz .LBB4_116
; %bb.115:                              ;   in Loop: Header=BB4_114 Depth=3
	global_load_dword v61, v[4:5], off offset:4 glc slc
.LBB4_116:                              ;   in Loop: Header=BB4_114 Depth=3
	s_or_b64 exec, exec, s[20:21]
	v_cmp_lt_u64_e32 vcc, 8, v[16:17]
	s_and_saveexec_b64 s[20:21], vcc
	s_cbranch_execz .LBB4_118
; %bb.117:                              ;   in Loop: Header=BB4_114 Depth=3
	global_load_dword v60, v[4:5], off offset:8 glc slc
.LBB4_118:                              ;   in Loop: Header=BB4_114 Depth=3
	s_or_b64 exec, exec, s[20:21]
	v_ashrrev_i32_e32 v1, 31, v0
	v_lshlrev_b64 v[4:5], 4, v[0:1]
	v_add_co_u32_e32 v24, vcc, v55, v4
	v_addc_co_u32_e32 v25, vcc, v57, v5, vcc
	global_load_dwordx4 v[16:19], v[24:25], off glc slc
	v_cmp_eq_u32_e32 vcc, 0, v7
	s_and_saveexec_b64 s[48:49], vcc
	s_cbranch_execz .LBB4_130
; %bb.119:                              ;   in Loop: Header=BB4_114 Depth=3
	s_waitcnt vmcnt(0)
	v_cmp_ne_u32_e32 vcc, v48, v17
	v_cmp_ne_u32_e64 s[20:21], v48, v19
	s_or_b64 s[20:21], vcc, s[20:21]
	v_mov_b32_e32 v7, 0
	s_and_saveexec_b64 s[50:51], s[20:21]
	s_cbranch_execz .LBB4_129
; %bb.120:                              ;   in Loop: Header=BB4_114 Depth=3
	s_mov_b32 s56, 1
	s_mov_b64 s[52:53], 0
	v_mov_b32_e32 v7, 0
	s_branch .LBB4_122
.LBB4_121:                              ;   in Loop: Header=BB4_122 Depth=4
	s_or_b64 exec, exec, s[54:55]
	s_and_b64 s[20:21], exec, s[20:21]
	s_or_b64 s[52:53], s[20:21], s[52:53]
	s_andn2_b64 exec, exec, s[52:53]
	s_cbranch_execz .LBB4_128
.LBB4_122:                              ;   Parent Loop BB4_21 Depth=1
                                        ;     Parent Loop BB4_70 Depth=2
                                        ;       Parent Loop BB4_114 Depth=3
                                        ; =>      This Inner Loop Header: Depth=4
	global_load_dwordx4 v[16:19], v[24:25], off glc slc
	s_add_i32 s56, s56, 1
	s_cmpk_lg_i32 s56, 0x2710
	s_cbranch_scc1 .LBB4_126
; %bb.123:                              ;   in Loop: Header=BB4_122 Depth=4
	s_trap 2
	ds_read_b64 v[32:33], v0
	s_waitcnt vmcnt(0) lgkmcnt(0)
	flat_load_dword v1, v[32:33] glc
	s_waitcnt vmcnt(0) lgkmcnt(0)
	buffer_invl2
	buffer_wbinvl1_vol
	v_cmp_ne_u32_e32 vcc, 0, v1
	s_and_saveexec_b64 s[20:21], vcc
	s_cbranch_execz .LBB4_125
; %bb.124:                              ;   in Loop: Header=BB4_122 Depth=4
	v_mov_b32_e32 v7, 1
	ds_write_b32 v0, v1
	s_trap 2
.LBB4_125:                              ;   in Loop: Header=BB4_122 Depth=4
	s_or_b64 exec, exec, s[20:21]
	s_mov_b32 s56, 0
	v_mov_b32_e32 v1, v7
	v_cmp_eq_u32_e32 vcc, 0, v1
	s_mov_b64 s[20:21], -1
	s_and_saveexec_b64 s[54:55], vcc
	s_cbranch_execz .LBB4_121
	s_branch .LBB4_127
.LBB4_126:                              ;   in Loop: Header=BB4_122 Depth=4
	v_mov_b32_e32 v1, 0
	v_cmp_eq_u32_e32 vcc, 0, v1
	s_mov_b64 s[20:21], -1
	s_and_saveexec_b64 s[54:55], vcc
	s_cbranch_execz .LBB4_121
.LBB4_127:                              ;   in Loop: Header=BB4_122 Depth=4
	s_waitcnt vmcnt(0)
	v_cmp_eq_u32_e32 vcc, v48, v17
	v_cmp_eq_u32_e64 s[20:21], v48, v19
	s_and_b64 s[20:21], vcc, s[20:21]
	s_orn2_b64 s[20:21], s[20:21], exec
	s_branch .LBB4_121
.LBB4_128:                              ;   in Loop: Header=BB4_114 Depth=3
	s_or_b64 exec, exec, s[52:53]
.LBB4_129:                              ;   in Loop: Header=BB4_114 Depth=3
	s_or_b64 exec, exec, s[50:51]
.LBB4_130:                              ;   in Loop: Header=BB4_114 Depth=3
	s_or_b64 exec, exec, s[48:49]
	s_waitcnt vmcnt(0)
	v_lshlrev_b32_e32 v19, 3, v10
	v_alignbit_b32 v22, v61, v2, v19
	v_cmp_ne_u16_sdwa s[20:21], v16, v23 src0_sel:BYTE_0 src1_sel:DWORD
                                        ; implicit-def: $vgpr32
	s_and_saveexec_b64 vcc, s[14:15]
	s_xor_b64 s[48:49], exec, vcc
	s_cbranch_execz .LBB4_144
; %bb.131:                              ;   in Loop: Header=BB4_114 Depth=3
	v_mov_b32_e32 v2, 0
	v_mov_b32_e32 v1, 0
	s_and_saveexec_b64 s[50:51], s[20:21]
	s_cbranch_execz .LBB4_137
; %bb.132:                              ;   in Loop: Header=BB4_114 Depth=3
	v_cmp_ne_u16_sdwa vcc, v16, s63 src0_sel:BYTE_0 src1_sel:DWORD
	v_bfrev_b32_e32 v1, 1
	s_and_saveexec_b64 s[52:53], vcc
	s_cbranch_execz .LBB4_136
; %bb.133:                              ;   in Loop: Header=BB4_114 Depth=3
	v_and_b32_e32 v24, 0x7f, v16
	v_cmp_ne_u32_e32 vcc, s64, v24
	v_mov_b32_e32 v1, 0x7f800001
	s_and_saveexec_b64 s[54:55], vcc
	s_cbranch_execz .LBB4_135
; %bb.134:                              ;   in Loop: Header=BB4_114 Depth=3
	v_and_b32_e32 v1, 7, v16
	v_ffbh_u32_e32 v1, v1
	v_min_u32_e32 v1, 32, v1
	v_subrev_u32_e32 v26, 28, v1
	v_cmp_gt_u32_e32 vcc, 8, v24
	v_lshrrev_b32_e32 v25, 3, v24
	v_sub_u32_e32 v1, 29, v1
	v_cndmask_b32_e32 v24, 0, v26, vcc
	v_cndmask_b32_e32 v1, v25, v1, vcc
	v_lshlrev_b64 v[24:25], v24, v[16:17]
	v_lshlrev_b32_e32 v24, 20, v24
	v_lshlrev_b32_e32 v25, 24, v16
	v_and_b32_e32 v24, 0x700000, v24
	v_and_b32_e32 v25, 0x80000000, v25
	v_lshl_add_u32 v1, v1, 23, v46
	v_or3_b32 v1, v25, v1, v24
.LBB4_135:                              ;   in Loop: Header=BB4_114 Depth=3
	s_or_b64 exec, exec, s[54:55]
.LBB4_136:                              ;   in Loop: Header=BB4_114 Depth=3
	s_or_b64 exec, exec, s[52:53]
.LBB4_137:                              ;   in Loop: Header=BB4_114 Depth=3
	s_or_b64 exec, exec, s[50:51]
	v_cmp_ne_u16_sdwa vcc, v22, v23 src0_sel:BYTE_0 src1_sel:DWORD
	s_and_saveexec_b64 s[50:51], vcc
	s_cbranch_execz .LBB4_143
; %bb.138:                              ;   in Loop: Header=BB4_114 Depth=3
	v_cmp_ne_u16_sdwa vcc, v22, s63 src0_sel:BYTE_0 src1_sel:DWORD
	v_bfrev_b32_e32 v2, 1
	s_and_saveexec_b64 s[52:53], vcc
	s_cbranch_execz .LBB4_142
; %bb.139:                              ;   in Loop: Header=BB4_114 Depth=3
	v_and_b32_e32 v24, 0x7f, v22
	v_cmp_ne_u32_e32 vcc, s64, v24
	v_mov_b32_e32 v2, 0x7f800001
	s_and_saveexec_b64 s[54:55], vcc
	s_cbranch_execz .LBB4_141
; %bb.140:                              ;   in Loop: Header=BB4_114 Depth=3
	v_and_b32_e32 v2, 7, v22
	v_ffbh_u32_e32 v2, v2
	v_min_u32_e32 v2, 32, v2
	v_subrev_u32_e32 v26, 28, v2
	v_cmp_gt_u32_e32 vcc, 8, v24
	v_lshrrev_b32_e32 v25, 3, v24
	v_sub_u32_e32 v2, 29, v2
	v_cndmask_b32_e32 v24, 0, v26, vcc
	v_cndmask_b32_e32 v2, v25, v2, vcc
	v_lshlrev_b64 v[24:25], v24, v[22:23]
	v_lshlrev_b32_e32 v24, 20, v24
	v_lshlrev_b32_e32 v25, 24, v22
	v_and_b32_e32 v24, 0x700000, v24
	v_and_b32_e32 v25, 0x80000000, v25
	v_lshl_add_u32 v2, v2, 23, v46
	v_or3_b32 v2, v25, v2, v24
.LBB4_141:                              ;   in Loop: Header=BB4_114 Depth=3
	s_or_b64 exec, exec, s[54:55]
.LBB4_142:                              ;   in Loop: Header=BB4_114 Depth=3
	s_or_b64 exec, exec, s[52:53]
.LBB4_143:                              ;   in Loop: Header=BB4_114 Depth=3
	s_or_b64 exec, exec, s[50:51]
	v_max_f32_e32 v2, v2, v2
	v_max_f32_e32 v1, v1, v1
	;; [unrolled: 1-line block ×3, first 2 shown]
.LBB4_144:                              ;   in Loop: Header=BB4_114 Depth=3
	s_andn2_saveexec_b64 s[48:49], s[48:49]
	s_cbranch_execz .LBB4_158
; %bb.145:                              ;   in Loop: Header=BB4_114 Depth=3
	v_mov_b32_e32 v2, 0
	v_mov_b32_e32 v1, 0
	s_and_saveexec_b64 s[50:51], s[20:21]
	s_cbranch_execz .LBB4_151
; %bb.146:                              ;   in Loop: Header=BB4_114 Depth=3
	v_cmp_ne_u16_sdwa vcc, v16, s63 src0_sel:BYTE_0 src1_sel:DWORD
	v_bfrev_b32_e32 v1, 1
	s_and_saveexec_b64 s[20:21], vcc
	s_cbranch_execz .LBB4_150
; %bb.147:                              ;   in Loop: Header=BB4_114 Depth=3
	v_and_b32_e32 v24, 0x7f, v16
	v_cmp_ne_u32_e32 vcc, s64, v24
	v_mov_b32_e32 v1, 0x7f800001
	s_and_saveexec_b64 s[52:53], vcc
	s_cbranch_execz .LBB4_149
; %bb.148:                              ;   in Loop: Header=BB4_114 Depth=3
	v_and_b32_e32 v1, 7, v16
	v_ffbh_u32_e32 v1, v1
	v_min_u32_e32 v1, 32, v1
	v_subrev_u32_e32 v26, 28, v1
	v_cmp_gt_u32_e32 vcc, 8, v24
	v_lshrrev_b32_e32 v25, 3, v24
	v_sub_u32_e32 v1, 29, v1
	v_cndmask_b32_e32 v24, 0, v26, vcc
	v_cndmask_b32_e32 v1, v25, v1, vcc
	v_lshlrev_b64 v[24:25], v24, v[16:17]
	v_lshlrev_b32_e32 v17, 20, v24
	v_lshlrev_b32_e32 v24, 24, v16
	v_and_b32_e32 v17, 0x700000, v17
	v_and_b32_e32 v24, 0x80000000, v24
	v_lshl_add_u32 v1, v1, 23, v46
	v_or3_b32 v1, v24, v1, v17
.LBB4_149:                              ;   in Loop: Header=BB4_114 Depth=3
	s_or_b64 exec, exec, s[52:53]
.LBB4_150:                              ;   in Loop: Header=BB4_114 Depth=3
	s_or_b64 exec, exec, s[20:21]
.LBB4_151:                              ;   in Loop: Header=BB4_114 Depth=3
	s_or_b64 exec, exec, s[50:51]
	v_cmp_ne_u16_sdwa vcc, v22, v23 src0_sel:BYTE_0 src1_sel:DWORD
	s_and_saveexec_b64 s[20:21], vcc
	s_cbranch_execz .LBB4_157
; %bb.152:                              ;   in Loop: Header=BB4_114 Depth=3
	v_cmp_ne_u16_sdwa vcc, v22, s63 src0_sel:BYTE_0 src1_sel:DWORD
	v_bfrev_b32_e32 v2, 1
	s_and_saveexec_b64 s[50:51], vcc
	s_cbranch_execz .LBB4_156
; %bb.153:                              ;   in Loop: Header=BB4_114 Depth=3
	v_and_b32_e32 v17, 0x7f, v22
	v_cmp_ne_u32_e32 vcc, s64, v17
	v_mov_b32_e32 v2, 0x7f800001
	s_and_saveexec_b64 s[52:53], vcc
	s_cbranch_execz .LBB4_155
; %bb.154:                              ;   in Loop: Header=BB4_114 Depth=3
	v_and_b32_e32 v2, 7, v22
	v_ffbh_u32_e32 v2, v2
	v_min_u32_e32 v2, 32, v2
	v_subrev_u32_e32 v25, 28, v2
	v_cmp_gt_u32_e32 vcc, 8, v17
	v_lshrrev_b32_e32 v24, 3, v17
	v_sub_u32_e32 v2, 29, v2
	v_cndmask_b32_e32 v17, 0, v25, vcc
	v_cndmask_b32_e32 v2, v24, v2, vcc
	v_lshlrev_b64 v[24:25], v17, v[22:23]
	v_lshlrev_b32_e32 v17, 20, v24
	v_lshlrev_b32_e32 v24, 24, v22
	v_and_b32_e32 v17, 0x700000, v17
	v_and_b32_e32 v24, 0x80000000, v24
	v_lshl_add_u32 v2, v2, 23, v46
	v_or3_b32 v2, v24, v2, v17
.LBB4_155:                              ;   in Loop: Header=BB4_114 Depth=3
	s_or_b64 exec, exec, s[52:53]
.LBB4_156:                              ;   in Loop: Header=BB4_114 Depth=3
	s_or_b64 exec, exec, s[50:51]
.LBB4_157:                              ;   in Loop: Header=BB4_114 Depth=3
	s_or_b64 exec, exec, s[20:21]
	v_max_f32_e32 v2, v2, v2
	v_max_f32_e32 v1, v1, v1
	v_min_f32_e32 v32, v1, v2
.LBB4_158:                              ;   in Loop: Header=BB4_114 Depth=3
	s_or_b64 exec, exec, s[48:49]
	v_and_b32_sdwa v2, v32, s63 dst_sel:DWORD dst_unused:UNUSED_PAD src0_sel:BYTE_3 src1_sel:DWORD
	v_and_b32_e32 v40, 0x7f800000, v32
	v_mov_b32_e32 v41, v23
	v_and_b32_e32 v24, 0x7fffff, v32
	v_mov_b32_e32 v25, v23
	v_or_b32_e32 v1, 0x7e, v2
	v_cmp_ne_u64_e32 vcc, s[38:39], v[40:41]
	s_and_saveexec_b64 s[20:21], vcc
	s_xor_b64 s[48:49], exec, s[20:21]
	s_cbranch_execz .LBB4_168
; %bb.159:                              ;   in Loop: Header=BB4_114 Depth=3
	v_and_b32_e32 v40, 0x7fffffff, v32
	v_mov_b32_e32 v41, v23
	v_cmp_gt_u64_e32 vcc, s[40:41], v[40:41]
	s_and_saveexec_b64 s[50:51], vcc
	s_cbranch_execz .LBB4_167
; %bb.160:                              ;   in Loop: Header=BB4_114 Depth=3
	v_cmp_ne_u32_e32 vcc, 0, v32
	v_mov_b32_e32 v1, 0
	s_and_saveexec_b64 s[52:53], vcc
	s_cbranch_execz .LBB4_166
; %bb.161:                              ;   in Loop: Header=BB4_114 Depth=3
	v_bfe_u32 v1, v32, 23, 8
	v_sub_u32_e32 v26, 0x79, v1
	v_cmp_gt_u32_e32 vcc, s65, v1
	v_add_u32_e32 v17, 0xffffff81, v1
	v_cndmask_b32_e32 v26, 0, v26, vcc
	v_cmp_eq_u32_e32 vcc, 0, v1
	v_cndmask_b32_e32 v1, v17, v47, vcc
	v_cndmask_b32_e32 v17, v26, v30, vcc
	v_add_u32_e32 v26, 20, v17
	v_or_b32_e32 v27, 0x800000, v24
	v_lshlrev_b64 v[32:33], v26, -1
	v_cndmask_b32_e32 v24, v27, v24, vcc
	v_not_b32_e32 v27, v32
	v_not_b32_e32 v26, v33
	v_and_b32_e32 v40, v24, v27
	v_lshrrev_b64 v[24:25], v17, v[24:25]
	v_and_b32_e32 v41, 0, v26
	v_add_u32_e32 v26, 19, v17
	v_lshrrev_b32_e32 v32, 23, v24
	v_lshlrev_b64 v[26:27], v26, 1
	v_add3_u32 v32, v17, v1, v32
	v_bfe_u32 v1, v24, 20, 1
	v_add_u32_e32 v1, -1, v1
	v_cmp_eq_u64_e32 vcc, v[40:41], v[26:27]
	v_cndmask_b32_e32 v1, 0, v1, vcc
	v_add_u32_e32 v1, v1, v24
	v_and_b32_e32 v1, 0xfffff, v1
	v_add_co_u32_e32 v24, vcc, v1, v24
	v_add_u32_e32 v17, 6, v32
	v_addc_co_u32_e32 v25, vcc, 0, v25, vcc
	v_cmp_ne_u32_e32 vcc, 0, v17
                                        ; implicit-def: $vgpr1
	s_and_saveexec_b64 s[20:21], vcc
	s_xor_b64 s[20:21], exec, s[20:21]
; %bb.162:                              ;   in Loop: Header=BB4_114 Depth=3
	v_add_u32_e32 v1, 7, v32
	v_cmp_lt_u64_e32 vcc, s[42:43], v[24:25]
	v_cndmask_b32_e32 v1, v17, v1, vcc
	v_cndmask_b32_e64 v17, 0, 1, vcc
	v_lshrrev_b64 v[24:25], v17, v[24:25]
; %bb.163:                              ;   in Loop: Header=BB4_114 Depth=3
	s_andn2_saveexec_b64 s[20:21], s[20:21]
; %bb.164:                              ;   in Loop: Header=BB4_114 Depth=3
	v_bfe_u32 v1, v24, 23, 1
; %bb.165:                              ;   in Loop: Header=BB4_114 Depth=3
	s_or_b64 exec, exec, s[20:21]
	v_lshrrev_b64 v[24:25], 20, v[24:25]
	v_cmp_gt_i32_e32 vcc, 16, v1
	v_cndmask_b32_e32 v25, 0, v25, vcc
	v_cndmask_b32_e32 v24, 7, v24, vcc
	v_cmp_eq_u32_e32 vcc, 0, v1
	v_min_i32_e32 v1, 15, v1
	v_cmp_eq_u64_e64 s[20:21], 0, v[24:25]
	v_lshlrev_b32_e32 v1, 3, v1
	v_and_or_b32 v1, v24, 7, v1
	s_and_b64 s[20:21], vcc, s[20:21]
	v_cndmask_b32_e64 v1, v1, 0, s[20:21]
	v_or_b32_e32 v1, v1, v2
.LBB4_166:                              ;   in Loop: Header=BB4_114 Depth=3
	s_or_b64 exec, exec, s[52:53]
.LBB4_167:                              ;   in Loop: Header=BB4_114 Depth=3
	s_or_b64 exec, exec, s[50:51]
                                        ; implicit-def: $vgpr32
                                        ; implicit-def: $vgpr24_vgpr25
.LBB4_168:                              ;   in Loop: Header=BB4_114 Depth=3
	s_andn2_saveexec_b64 s[20:21], s[48:49]
; %bb.169:                              ;   in Loop: Header=BB4_114 Depth=3
	v_or_b32_sdwa v2, v32, s64 dst_sel:DWORD dst_unused:UNUSED_PAD src0_sel:BYTE_3 src1_sel:DWORD
	v_cmp_eq_u64_e32 vcc, 0, v[24:25]
	v_cndmask_b32_e32 v1, v2, v1, vcc
; %bb.170:                              ;   in Loop: Header=BB4_114 Depth=3
	s_or_b64 exec, exec, s[20:21]
	v_lshrrev_b16_e32 v24, 8, v16
	v_lshrrev_b16_e32 v2, 8, v22
	v_cmp_ne_u16_e32 vcc, 0, v24
                                        ; implicit-def: $vgpr17
	s_and_saveexec_b64 s[20:21], s[14:15]
	s_xor_b64 s[48:49], exec, s[20:21]
	s_cbranch_execz .LBB4_184
; %bb.171:                              ;   in Loop: Header=BB4_114 Depth=3
	v_mov_b32_e32 v25, 0
	v_mov_b32_e32 v17, 0
	s_and_saveexec_b64 s[50:51], vcc
	s_cbranch_execz .LBB4_177
; %bb.172:                              ;   in Loop: Header=BB4_114 Depth=3
	v_cmp_ne_u16_e64 s[20:21], s63, v24
	v_bfrev_b32_e32 v17, 1
	s_and_saveexec_b64 s[52:53], s[20:21]
	s_cbranch_execz .LBB4_176
; %bb.173:                              ;   in Loop: Header=BB4_114 Depth=3
	v_and_b32_e32 v32, 0x7f, v24
	v_cmp_ne_u32_e64 s[20:21], s64, v32
	v_mov_b32_e32 v17, 0x7f800001
	s_and_saveexec_b64 s[54:55], s[20:21]
	s_cbranch_execz .LBB4_175
; %bb.174:                              ;   in Loop: Header=BB4_114 Depth=3
	v_and_b32_e32 v17, 7, v24
	v_ffbh_u32_e32 v26, v17
	v_min_u32_e32 v36, 32, v26
	v_subrev_u32_e32 v26, 28, v36
	v_lshlrev_b64 v[26:27], v26, v[24:25]
	v_lshrrev_b32_e32 v33, 3, v32
	v_sub_u32_e32 v24, 29, v36
	v_and_b32_e32 v26, 7, v26
	v_cmp_gt_u32_e64 s[20:21], 8, v32
	v_cndmask_b32_e64 v24, v33, v24, s[20:21]
	v_cndmask_b32_e64 v17, v17, v26, s[20:21]
	v_lshlrev_b32_e32 v26, 16, v16
	v_lshlrev_b32_e32 v17, 20, v17
	v_and_b32_e32 v26, 0x80000000, v26
	v_lshl_add_u32 v24, v24, 23, v46
	v_or3_b32 v17, v26, v24, v17
.LBB4_175:                              ;   in Loop: Header=BB4_114 Depth=3
	s_or_b64 exec, exec, s[54:55]
.LBB4_176:                              ;   in Loop: Header=BB4_114 Depth=3
	s_or_b64 exec, exec, s[52:53]
.LBB4_177:                              ;   in Loop: Header=BB4_114 Depth=3
	s_or_b64 exec, exec, s[50:51]
	v_cmp_ne_u16_e64 s[20:21], 0, v2
	s_and_saveexec_b64 s[50:51], s[20:21]
	s_cbranch_execz .LBB4_183
; %bb.178:                              ;   in Loop: Header=BB4_114 Depth=3
	v_cmp_ne_u16_e64 s[20:21], s63, v2
	v_bfrev_b32_e32 v25, 1
	s_and_saveexec_b64 s[52:53], s[20:21]
	s_cbranch_execz .LBB4_182
; %bb.179:                              ;   in Loop: Header=BB4_114 Depth=3
	v_and_b32_e32 v24, 0x7f, v2
	v_cmp_ne_u32_e64 s[20:21], s64, v24
	v_mov_b32_e32 v25, 0x7f800001
	s_and_saveexec_b64 s[54:55], s[20:21]
	s_cbranch_execz .LBB4_181
; %bb.180:                              ;   in Loop: Header=BB4_114 Depth=3
	v_and_b32_e32 v25, 7, v2
	v_ffbh_u32_e32 v26, v25
	v_min_u32_e32 v33, 32, v26
	v_subrev_u32_e32 v26, 28, v33
	v_lshlrev_b64 v[26:27], v26, v[2:3]
	v_lshrrev_b32_e32 v32, 3, v24
	v_sub_u32_e32 v2, 29, v33
	v_and_b32_e32 v26, 7, v26
	v_cmp_gt_u32_e64 s[20:21], 8, v24
	v_cndmask_b32_e64 v2, v32, v2, s[20:21]
	v_cndmask_b32_e64 v24, v25, v26, s[20:21]
	v_lshlrev_b32_e32 v25, 16, v22
	v_lshlrev_b32_e32 v24, 20, v24
	v_and_b32_e32 v25, 0x80000000, v25
	v_lshl_add_u32 v2, v2, 23, v46
	v_or3_b32 v25, v25, v2, v24
.LBB4_181:                              ;   in Loop: Header=BB4_114 Depth=3
	s_or_b64 exec, exec, s[54:55]
.LBB4_182:                              ;   in Loop: Header=BB4_114 Depth=3
	s_or_b64 exec, exec, s[52:53]
.LBB4_183:                              ;   in Loop: Header=BB4_114 Depth=3
	s_or_b64 exec, exec, s[50:51]
	v_max_f32_e32 v2, v25, v25
	v_max_f32_e32 v17, v17, v17
	;; [unrolled: 1-line block ×3, first 2 shown]
                                        ; implicit-def: $vgpr2
                                        ; implicit-def: $vgpr24
.LBB4_184:                              ;   in Loop: Header=BB4_114 Depth=3
	s_andn2_saveexec_b64 s[20:21], s[48:49]
	s_cbranch_execz .LBB4_198
; %bb.185:                              ;   in Loop: Header=BB4_114 Depth=3
	v_mov_b32_e32 v25, 0
	v_mov_b32_e32 v17, 0
	s_and_saveexec_b64 s[48:49], vcc
	s_cbranch_execz .LBB4_191
; %bb.186:                              ;   in Loop: Header=BB4_114 Depth=3
	v_cmp_ne_u16_e32 vcc, s63, v24
	v_bfrev_b32_e32 v17, 1
	s_and_saveexec_b64 s[50:51], vcc
	s_cbranch_execz .LBB4_190
; %bb.187:                              ;   in Loop: Header=BB4_114 Depth=3
	v_and_b32_e32 v32, 0x7f, v24
	v_cmp_ne_u32_e32 vcc, s64, v32
	v_mov_b32_e32 v17, 0x7f800001
	s_and_saveexec_b64 s[52:53], vcc
	s_cbranch_execz .LBB4_189
; %bb.188:                              ;   in Loop: Header=BB4_114 Depth=3
	v_and_b32_e32 v17, 7, v24
	v_ffbh_u32_e32 v26, v17
	v_min_u32_e32 v36, 32, v26
	v_subrev_u32_e32 v26, 28, v36
	v_lshlrev_b64 v[26:27], v26, v[24:25]
	v_lshrrev_b32_e32 v33, 3, v32
	v_sub_u32_e32 v24, 29, v36
	v_and_b32_e32 v26, 7, v26
	v_cmp_gt_u32_e32 vcc, 8, v32
	v_cndmask_b32_e32 v24, v33, v24, vcc
	v_cndmask_b32_e32 v17, v17, v26, vcc
	v_lshlrev_b32_e32 v26, 16, v16
	v_lshlrev_b32_e32 v17, 20, v17
	v_and_b32_e32 v26, 0x80000000, v26
	v_lshl_add_u32 v24, v24, 23, v46
	v_or3_b32 v17, v26, v24, v17
.LBB4_189:                              ;   in Loop: Header=BB4_114 Depth=3
	s_or_b64 exec, exec, s[52:53]
.LBB4_190:                              ;   in Loop: Header=BB4_114 Depth=3
	s_or_b64 exec, exec, s[50:51]
.LBB4_191:                              ;   in Loop: Header=BB4_114 Depth=3
	s_or_b64 exec, exec, s[48:49]
	v_cmp_ne_u16_e32 vcc, 0, v2
	s_and_saveexec_b64 s[48:49], vcc
	s_cbranch_execz .LBB4_197
; %bb.192:                              ;   in Loop: Header=BB4_114 Depth=3
	v_cmp_ne_u16_e32 vcc, s63, v2
	v_bfrev_b32_e32 v25, 1
	s_and_saveexec_b64 s[50:51], vcc
	s_cbranch_execz .LBB4_196
; %bb.193:                              ;   in Loop: Header=BB4_114 Depth=3
	v_and_b32_e32 v24, 0x7f, v2
	v_cmp_ne_u32_e32 vcc, s64, v24
	v_mov_b32_e32 v25, 0x7f800001
	s_and_saveexec_b64 s[52:53], vcc
	s_cbranch_execz .LBB4_195
; %bb.194:                              ;   in Loop: Header=BB4_114 Depth=3
	v_and_b32_e32 v25, 7, v2
	v_ffbh_u32_e32 v26, v25
	v_min_u32_e32 v33, 32, v26
	v_subrev_u32_e32 v26, 28, v33
	v_lshlrev_b64 v[26:27], v26, v[2:3]
	v_lshrrev_b32_e32 v32, 3, v24
	v_sub_u32_e32 v2, 29, v33
	v_and_b32_e32 v26, 7, v26
	v_cmp_gt_u32_e32 vcc, 8, v24
	v_cndmask_b32_e32 v2, v32, v2, vcc
	v_cndmask_b32_e32 v24, v25, v26, vcc
	v_lshlrev_b32_e32 v25, 16, v22
	v_lshlrev_b32_e32 v24, 20, v24
	v_and_b32_e32 v25, 0x80000000, v25
	v_lshl_add_u32 v2, v2, 23, v46
	v_or3_b32 v25, v25, v2, v24
.LBB4_195:                              ;   in Loop: Header=BB4_114 Depth=3
	s_or_b64 exec, exec, s[52:53]
.LBB4_196:                              ;   in Loop: Header=BB4_114 Depth=3
	s_or_b64 exec, exec, s[50:51]
.LBB4_197:                              ;   in Loop: Header=BB4_114 Depth=3
	s_or_b64 exec, exec, s[48:49]
	v_max_f32_e32 v2, v25, v25
	v_max_f32_e32 v17, v17, v17
	v_min_f32_e32 v17, v17, v2
.LBB4_198:                              ;   in Loop: Header=BB4_114 Depth=3
	s_or_b64 exec, exec, s[20:21]
	v_and_b32_sdwa v2, v17, s63 dst_sel:DWORD dst_unused:UNUSED_PAD src0_sel:BYTE_3 src1_sel:DWORD
	v_and_b32_e32 v26, 0x7f800000, v17
	v_mov_b32_e32 v27, v23
	v_and_b32_e32 v24, 0x7fffff, v17
	v_mov_b32_e32 v25, v23
	v_or_b32_e32 v32, 0x7e, v2
	v_cmp_ne_u64_e32 vcc, s[38:39], v[26:27]
	s_and_saveexec_b64 s[20:21], vcc
	s_xor_b64 s[48:49], exec, s[20:21]
	s_cbranch_execz .LBB4_208
; %bb.199:                              ;   in Loop: Header=BB4_114 Depth=3
	v_and_b32_e32 v26, 0x7fffffff, v17
	v_mov_b32_e32 v27, v23
	v_cmp_gt_u64_e32 vcc, s[40:41], v[26:27]
	s_and_saveexec_b64 s[50:51], vcc
	s_cbranch_execz .LBB4_207
; %bb.200:                              ;   in Loop: Header=BB4_114 Depth=3
	v_cmp_ne_u32_e32 vcc, 0, v17
	v_mov_b32_e32 v32, 0
	s_and_saveexec_b64 s[52:53], vcc
	s_cbranch_execz .LBB4_206
; %bb.201:                              ;   in Loop: Header=BB4_114 Depth=3
	v_bfe_u32 v17, v17, 23, 8
	v_sub_u32_e32 v27, 0x79, v17
	v_cmp_gt_u32_e32 vcc, s65, v17
	v_cndmask_b32_e32 v27, 0, v27, vcc
	v_cmp_eq_u32_e32 vcc, 0, v17
	v_add_u32_e32 v26, 0xffffff81, v17
	v_cndmask_b32_e32 v33, v27, v30, vcc
	v_cndmask_b32_e32 v17, v26, v47, vcc
	v_add_u32_e32 v26, 20, v33
	v_or_b32_e32 v32, 0x800000, v24
	v_lshlrev_b64 v[26:27], v26, -1
	v_cndmask_b32_e32 v24, v32, v24, vcc
	v_not_b32_e32 v26, v26
	v_and_b32_e32 v26, v24, v26
	v_add_u32_e32 v32, 19, v33
	v_lshrrev_b64 v[24:25], v33, v[24:25]
	v_not_b32_e32 v27, v27
	v_lshlrev_b64 v[40:41], v32, 1
	v_lshrrev_b32_e32 v32, 23, v24
	v_and_b32_e32 v27, 0, v27
	v_add3_u32 v33, v33, v17, v32
	v_bfe_u32 v17, v24, 20, 1
	v_add_u32_e32 v17, -1, v17
	v_cmp_eq_u64_e32 vcc, v[26:27], v[40:41]
	v_cndmask_b32_e32 v17, 0, v17, vcc
	v_add_u32_e32 v17, v17, v24
	v_and_b32_e32 v17, 0xfffff, v17
	v_add_co_u32_e32 v24, vcc, v17, v24
	v_add_u32_e32 v32, 6, v33
	v_addc_co_u32_e32 v25, vcc, 0, v25, vcc
	v_cmp_ne_u32_e32 vcc, 0, v32
                                        ; implicit-def: $vgpr17
	s_and_saveexec_b64 s[20:21], vcc
	s_xor_b64 s[20:21], exec, s[20:21]
; %bb.202:                              ;   in Loop: Header=BB4_114 Depth=3
	v_cmp_lt_u64_e32 vcc, s[42:43], v[24:25]
	v_add_u32_e32 v17, 7, v33
	v_cndmask_b32_e64 v26, 0, 1, vcc
	v_cndmask_b32_e32 v17, v32, v17, vcc
	v_lshrrev_b64 v[24:25], v26, v[24:25]
; %bb.203:                              ;   in Loop: Header=BB4_114 Depth=3
	s_andn2_saveexec_b64 s[20:21], s[20:21]
; %bb.204:                              ;   in Loop: Header=BB4_114 Depth=3
	v_bfe_u32 v17, v24, 23, 1
; %bb.205:                              ;   in Loop: Header=BB4_114 Depth=3
	s_or_b64 exec, exec, s[20:21]
	v_lshrrev_b64 v[24:25], 20, v[24:25]
	v_cmp_gt_i32_e32 vcc, 16, v17
	v_cndmask_b32_e32 v25, 0, v25, vcc
	v_cndmask_b32_e32 v24, 7, v24, vcc
	v_cmp_eq_u32_e32 vcc, 0, v17
	v_min_i32_e32 v17, 15, v17
	v_cmp_eq_u64_e64 s[20:21], 0, v[24:25]
	v_lshlrev_b32_e32 v17, 3, v17
	v_and_or_b32 v17, v24, 7, v17
	s_and_b64 s[20:21], vcc, s[20:21]
	v_cndmask_b32_e64 v17, v17, 0, s[20:21]
	v_or_b32_e32 v32, v17, v2
.LBB4_206:                              ;   in Loop: Header=BB4_114 Depth=3
	s_or_b64 exec, exec, s[52:53]
.LBB4_207:                              ;   in Loop: Header=BB4_114 Depth=3
	s_or_b64 exec, exec, s[50:51]
                                        ; implicit-def: $vgpr17
                                        ; implicit-def: $vgpr24_vgpr25
.LBB4_208:                              ;   in Loop: Header=BB4_114 Depth=3
	s_andn2_saveexec_b64 s[20:21], s[48:49]
; %bb.209:                              ;   in Loop: Header=BB4_114 Depth=3
	v_or_b32_sdwa v2, v17, s64 dst_sel:DWORD dst_unused:UNUSED_PAD src0_sel:BYTE_3 src1_sel:DWORD
	v_cmp_eq_u64_e32 vcc, 0, v[24:25]
	v_cndmask_b32_e32 v32, v2, v32, vcc
; %bb.210:                              ;   in Loop: Header=BB4_114 Depth=3
	s_or_b64 exec, exec, s[20:21]
	v_lshrrev_b32_e32 v24, 16, v16
	v_lshrrev_b32_e32 v2, 16, v22
	v_cmp_ne_u16_sdwa s[20:21], v24, v23 src0_sel:BYTE_0 src1_sel:DWORD
                                        ; implicit-def: $vgpr17
	s_and_saveexec_b64 vcc, s[14:15]
	s_xor_b64 s[48:49], exec, vcc
	s_cbranch_execz .LBB4_224
; %bb.211:                              ;   in Loop: Header=BB4_114 Depth=3
	v_mov_b32_e32 v25, 0
	v_mov_b32_e32 v17, 0
	s_and_saveexec_b64 s[50:51], s[20:21]
	s_cbranch_execz .LBB4_217
; %bb.212:                              ;   in Loop: Header=BB4_114 Depth=3
	v_cmp_ne_u16_sdwa vcc, v24, s63 src0_sel:BYTE_0 src1_sel:DWORD
	v_bfrev_b32_e32 v17, 1
	s_and_saveexec_b64 s[52:53], vcc
	s_cbranch_execz .LBB4_216
; %bb.213:                              ;   in Loop: Header=BB4_114 Depth=3
	v_bfe_u32 v33, v16, 16, 7
	v_cmp_ne_u32_e32 vcc, s64, v33
	v_mov_b32_e32 v17, 0x7f800001
	s_and_saveexec_b64 s[54:55], vcc
	s_cbranch_execz .LBB4_215
; %bb.214:                              ;   in Loop: Header=BB4_114 Depth=3
	v_and_b32_e32 v17, 7, v24
	v_ffbh_u32_e32 v26, v17
	v_min_u32_e32 v37, 32, v26
	v_subrev_u32_e32 v26, 28, v37
	v_lshlrev_b64 v[26:27], v26, v[24:25]
	v_lshrrev_b32_e32 v36, 3, v33
	v_sub_u32_e32 v27, 29, v37
	v_and_b32_e32 v26, 7, v26
	v_cmp_gt_u32_e32 vcc, 8, v33
	v_cndmask_b32_e32 v27, v36, v27, vcc
	v_cndmask_b32_e32 v17, v17, v26, vcc
	v_lshlrev_b32_e32 v24, 24, v24
	v_lshlrev_b32_e32 v17, 20, v17
	v_and_b32_e32 v24, 0x80000000, v24
	v_lshl_add_u32 v26, v27, 23, v46
	v_or3_b32 v17, v24, v26, v17
.LBB4_215:                              ;   in Loop: Header=BB4_114 Depth=3
	s_or_b64 exec, exec, s[54:55]
.LBB4_216:                              ;   in Loop: Header=BB4_114 Depth=3
	s_or_b64 exec, exec, s[52:53]
.LBB4_217:                              ;   in Loop: Header=BB4_114 Depth=3
	s_or_b64 exec, exec, s[50:51]
	v_and_b32_sdwa v24, v22, s62 dst_sel:DWORD dst_unused:UNUSED_PAD src0_sel:WORD_1 src1_sel:DWORD
	v_cmp_ne_u16_e32 vcc, 0, v24
	s_and_saveexec_b64 s[50:51], vcc
	s_cbranch_execz .LBB4_223
; %bb.218:                              ;   in Loop: Header=BB4_114 Depth=3
	v_cmp_ne_u16_e32 vcc, s63, v24
	v_bfrev_b32_e32 v25, 1
	s_and_saveexec_b64 s[52:53], vcc
	s_cbranch_execz .LBB4_222
; %bb.219:                              ;   in Loop: Header=BB4_114 Depth=3
	v_bfe_u32 v24, v22, 16, 7
	v_cmp_ne_u32_e32 vcc, s64, v24
	v_mov_b32_e32 v25, 0x7f800001
	s_and_saveexec_b64 s[54:55], vcc
	s_cbranch_execz .LBB4_221
; %bb.220:                              ;   in Loop: Header=BB4_114 Depth=3
	v_and_b32_e32 v25, 7, v2
	v_ffbh_u32_e32 v26, v25
	v_min_u32_e32 v36, 32, v26
	v_subrev_u32_e32 v26, 28, v36
	v_lshlrev_b64 v[26:27], v26, v[2:3]
	v_lshrrev_b32_e32 v33, 3, v24
	v_sub_u32_e32 v2, 29, v36
	v_and_b32_e32 v26, 7, v26
	v_cmp_gt_u32_e32 vcc, 8, v24
	v_cndmask_b32_e32 v2, v33, v2, vcc
	v_cndmask_b32_e32 v24, v25, v26, vcc
	v_lshlrev_b32_sdwa v25, v6, v22 dst_sel:DWORD dst_unused:UNUSED_PAD src0_sel:DWORD src1_sel:WORD_1
	v_lshlrev_b32_e32 v24, 20, v24
	v_and_b32_e32 v25, 0x80000000, v25
	v_lshl_add_u32 v2, v2, 23, v46
	v_or3_b32 v25, v25, v2, v24
.LBB4_221:                              ;   in Loop: Header=BB4_114 Depth=3
	s_or_b64 exec, exec, s[54:55]
.LBB4_222:                              ;   in Loop: Header=BB4_114 Depth=3
	s_or_b64 exec, exec, s[52:53]
.LBB4_223:                              ;   in Loop: Header=BB4_114 Depth=3
	s_or_b64 exec, exec, s[50:51]
	v_max_f32_e32 v2, v25, v25
	v_max_f32_e32 v17, v17, v17
	;; [unrolled: 1-line block ×3, first 2 shown]
                                        ; implicit-def: $vgpr24
                                        ; implicit-def: $vgpr2
.LBB4_224:                              ;   in Loop: Header=BB4_114 Depth=3
	s_andn2_saveexec_b64 s[48:49], s[48:49]
	s_cbranch_execz .LBB4_238
; %bb.225:                              ;   in Loop: Header=BB4_114 Depth=3
	v_mov_b32_e32 v25, 0
	v_mov_b32_e32 v17, 0
	s_and_saveexec_b64 s[50:51], s[20:21]
	s_cbranch_execz .LBB4_231
; %bb.226:                              ;   in Loop: Header=BB4_114 Depth=3
	v_cmp_ne_u16_sdwa vcc, v24, s63 src0_sel:BYTE_0 src1_sel:DWORD
	v_bfrev_b32_e32 v17, 1
	s_and_saveexec_b64 s[20:21], vcc
	s_cbranch_execz .LBB4_230
; %bb.227:                              ;   in Loop: Header=BB4_114 Depth=3
	v_bfe_u32 v33, v16, 16, 7
	v_cmp_ne_u32_e32 vcc, s64, v33
	v_mov_b32_e32 v17, 0x7f800001
	s_and_saveexec_b64 s[52:53], vcc
	s_cbranch_execz .LBB4_229
; %bb.228:                              ;   in Loop: Header=BB4_114 Depth=3
	v_and_b32_e32 v17, 7, v24
	v_ffbh_u32_e32 v26, v17
	v_min_u32_e32 v37, 32, v26
	v_subrev_u32_e32 v26, 28, v37
	v_lshlrev_b64 v[26:27], v26, v[24:25]
	v_lshrrev_b32_e32 v36, 3, v33
	v_sub_u32_e32 v27, 29, v37
	v_and_b32_e32 v26, 7, v26
	v_cmp_gt_u32_e32 vcc, 8, v33
	v_cndmask_b32_e32 v27, v36, v27, vcc
	v_cndmask_b32_e32 v17, v17, v26, vcc
	v_lshlrev_b32_e32 v24, 24, v24
	v_lshlrev_b32_e32 v17, 20, v17
	v_and_b32_e32 v24, 0x80000000, v24
	v_lshl_add_u32 v26, v27, 23, v46
	v_or3_b32 v17, v24, v26, v17
.LBB4_229:                              ;   in Loop: Header=BB4_114 Depth=3
	s_or_b64 exec, exec, s[52:53]
.LBB4_230:                              ;   in Loop: Header=BB4_114 Depth=3
	s_or_b64 exec, exec, s[20:21]
.LBB4_231:                              ;   in Loop: Header=BB4_114 Depth=3
	s_or_b64 exec, exec, s[50:51]
	v_and_b32_sdwa v24, v22, s62 dst_sel:DWORD dst_unused:UNUSED_PAD src0_sel:WORD_1 src1_sel:DWORD
	v_cmp_ne_u16_e32 vcc, 0, v24
	s_and_saveexec_b64 s[20:21], vcc
	s_cbranch_execz .LBB4_237
; %bb.232:                              ;   in Loop: Header=BB4_114 Depth=3
	v_cmp_ne_u16_e32 vcc, s63, v24
	v_bfrev_b32_e32 v25, 1
	s_and_saveexec_b64 s[50:51], vcc
	s_cbranch_execz .LBB4_236
; %bb.233:                              ;   in Loop: Header=BB4_114 Depth=3
	v_bfe_u32 v24, v22, 16, 7
	v_cmp_ne_u32_e32 vcc, s64, v24
	v_mov_b32_e32 v25, 0x7f800001
	s_and_saveexec_b64 s[52:53], vcc
	s_cbranch_execz .LBB4_235
; %bb.234:                              ;   in Loop: Header=BB4_114 Depth=3
	v_and_b32_e32 v25, 7, v2
	v_ffbh_u32_e32 v26, v25
	v_min_u32_e32 v36, 32, v26
	v_subrev_u32_e32 v26, 28, v36
	v_lshlrev_b64 v[26:27], v26, v[2:3]
	v_lshrrev_b32_e32 v33, 3, v24
	v_sub_u32_e32 v2, 29, v36
	v_and_b32_e32 v26, 7, v26
	v_cmp_gt_u32_e32 vcc, 8, v24
	v_cndmask_b32_e32 v2, v33, v2, vcc
	v_cndmask_b32_e32 v24, v25, v26, vcc
	v_lshlrev_b32_sdwa v25, v6, v22 dst_sel:DWORD dst_unused:UNUSED_PAD src0_sel:DWORD src1_sel:WORD_1
	v_lshlrev_b32_e32 v24, 20, v24
	v_and_b32_e32 v25, 0x80000000, v25
	v_lshl_add_u32 v2, v2, 23, v46
	v_or3_b32 v25, v25, v2, v24
.LBB4_235:                              ;   in Loop: Header=BB4_114 Depth=3
	s_or_b64 exec, exec, s[52:53]
.LBB4_236:                              ;   in Loop: Header=BB4_114 Depth=3
	s_or_b64 exec, exec, s[50:51]
.LBB4_237:                              ;   in Loop: Header=BB4_114 Depth=3
	s_or_b64 exec, exec, s[20:21]
	v_max_f32_e32 v2, v25, v25
	v_max_f32_e32 v17, v17, v17
	v_min_f32_e32 v17, v17, v2
.LBB4_238:                              ;   in Loop: Header=BB4_114 Depth=3
	s_or_b64 exec, exec, s[48:49]
	v_and_b32_sdwa v2, v17, s63 dst_sel:DWORD dst_unused:UNUSED_PAD src0_sel:BYTE_3 src1_sel:DWORD
	v_and_b32_e32 v26, 0x7f800000, v17
	v_mov_b32_e32 v27, v23
	v_and_b32_e32 v24, 0x7fffff, v17
	v_mov_b32_e32 v25, v23
	v_or_b32_e32 v33, 0x7e, v2
	v_cmp_ne_u64_e32 vcc, s[38:39], v[26:27]
	s_and_saveexec_b64 s[20:21], vcc
	s_xor_b64 s[48:49], exec, s[20:21]
	s_cbranch_execz .LBB4_248
; %bb.239:                              ;   in Loop: Header=BB4_114 Depth=3
	v_and_b32_e32 v26, 0x7fffffff, v17
	v_mov_b32_e32 v27, v23
	v_cmp_gt_u64_e32 vcc, s[40:41], v[26:27]
	s_and_saveexec_b64 s[50:51], vcc
	s_cbranch_execz .LBB4_247
; %bb.240:                              ;   in Loop: Header=BB4_114 Depth=3
	v_cmp_ne_u32_e32 vcc, 0, v17
	v_mov_b32_e32 v33, 0
	s_and_saveexec_b64 s[52:53], vcc
	s_cbranch_execz .LBB4_246
; %bb.241:                              ;   in Loop: Header=BB4_114 Depth=3
	v_bfe_u32 v17, v17, 23, 8
	v_sub_u32_e32 v27, 0x79, v17
	v_cmp_gt_u32_e32 vcc, s65, v17
	v_cndmask_b32_e32 v27, 0, v27, vcc
	v_cmp_eq_u32_e32 vcc, 0, v17
	v_add_u32_e32 v26, 0xffffff81, v17
	v_cndmask_b32_e32 v36, v27, v30, vcc
	v_cndmask_b32_e32 v17, v26, v47, vcc
	v_add_u32_e32 v26, 20, v36
	v_or_b32_e32 v33, 0x800000, v24
	v_lshlrev_b64 v[26:27], v26, -1
	v_cndmask_b32_e32 v24, v33, v24, vcc
	v_not_b32_e32 v26, v26
	v_and_b32_e32 v26, v24, v26
	v_add_u32_e32 v33, 19, v36
	v_lshrrev_b64 v[24:25], v36, v[24:25]
	v_not_b32_e32 v27, v27
	v_lshlrev_b64 v[40:41], v33, 1
	v_lshrrev_b32_e32 v33, 23, v24
	v_and_b32_e32 v27, 0, v27
	v_add3_u32 v62, v36, v17, v33
	v_bfe_u32 v17, v24, 20, 1
	v_add_u32_e32 v17, -1, v17
	v_cmp_eq_u64_e32 vcc, v[26:27], v[40:41]
	v_cndmask_b32_e32 v17, 0, v17, vcc
	v_add_u32_e32 v17, v17, v24
	v_and_b32_e32 v17, 0xfffff, v17
	v_add_co_u32_e32 v24, vcc, v17, v24
	v_add_u32_e32 v33, 6, v62
	v_addc_co_u32_e32 v25, vcc, 0, v25, vcc
	v_cmp_ne_u32_e32 vcc, 0, v33
                                        ; implicit-def: $vgpr17
	s_and_saveexec_b64 s[20:21], vcc
	s_xor_b64 s[20:21], exec, s[20:21]
; %bb.242:                              ;   in Loop: Header=BB4_114 Depth=3
	v_cmp_lt_u64_e32 vcc, s[42:43], v[24:25]
	v_add_u32_e32 v17, 7, v62
	v_cndmask_b32_e64 v26, 0, 1, vcc
	v_cndmask_b32_e32 v17, v33, v17, vcc
	v_lshrrev_b64 v[24:25], v26, v[24:25]
; %bb.243:                              ;   in Loop: Header=BB4_114 Depth=3
	s_andn2_saveexec_b64 s[20:21], s[20:21]
; %bb.244:                              ;   in Loop: Header=BB4_114 Depth=3
	v_bfe_u32 v17, v24, 23, 1
; %bb.245:                              ;   in Loop: Header=BB4_114 Depth=3
	s_or_b64 exec, exec, s[20:21]
	v_lshrrev_b64 v[24:25], 20, v[24:25]
	v_cmp_gt_i32_e32 vcc, 16, v17
	v_cndmask_b32_e32 v25, 0, v25, vcc
	v_cndmask_b32_e32 v24, 7, v24, vcc
	v_cmp_eq_u32_e32 vcc, 0, v17
	v_min_i32_e32 v17, 15, v17
	v_cmp_eq_u64_e64 s[20:21], 0, v[24:25]
	v_lshlrev_b32_e32 v17, 3, v17
	v_and_or_b32 v17, v24, 7, v17
	s_and_b64 s[20:21], vcc, s[20:21]
	v_cndmask_b32_e64 v17, v17, 0, s[20:21]
	v_or_b32_e32 v33, v17, v2
.LBB4_246:                              ;   in Loop: Header=BB4_114 Depth=3
	s_or_b64 exec, exec, s[52:53]
.LBB4_247:                              ;   in Loop: Header=BB4_114 Depth=3
	s_or_b64 exec, exec, s[50:51]
                                        ; implicit-def: $vgpr17
                                        ; implicit-def: $vgpr24_vgpr25
.LBB4_248:                              ;   in Loop: Header=BB4_114 Depth=3
	s_andn2_saveexec_b64 s[20:21], s[48:49]
; %bb.249:                              ;   in Loop: Header=BB4_114 Depth=3
	v_or_b32_sdwa v2, v17, s64 dst_sel:DWORD dst_unused:UNUSED_PAD src0_sel:BYTE_3 src1_sel:DWORD
	v_cmp_eq_u64_e32 vcc, 0, v[24:25]
	v_cndmask_b32_e32 v33, v2, v33, vcc
; %bb.250:                              ;   in Loop: Header=BB4_114 Depth=3
	s_or_b64 exec, exec, s[20:21]
	v_lshrrev_b32_e32 v24, 24, v16
	v_lshrrev_b32_e32 v2, 24, v22
	v_cmp_lt_u32_e32 vcc, s66, v16
                                        ; implicit-def: $vgpr17
	s_and_saveexec_b64 s[20:21], s[14:15]
	s_xor_b64 s[48:49], exec, s[20:21]
	s_cbranch_execz .LBB4_264
; %bb.251:                              ;   in Loop: Header=BB4_114 Depth=3
	v_mov_b32_e32 v25, 0
	v_mov_b32_e32 v17, 0
	s_and_saveexec_b64 s[50:51], vcc
	s_cbranch_execz .LBB4_257
; %bb.252:                              ;   in Loop: Header=BB4_114 Depth=3
	v_cmp_ne_u32_e64 s[20:21], s63, v24
	v_bfrev_b32_e32 v17, 1
	s_and_saveexec_b64 s[52:53], s[20:21]
	s_cbranch_execz .LBB4_256
; %bb.253:                              ;   in Loop: Header=BB4_114 Depth=3
	v_bfe_u32 v16, v16, 24, 7
	v_cmp_ne_u32_e64 s[20:21], s64, v16
	v_mov_b32_e32 v17, 0x7f800001
	s_and_saveexec_b64 s[54:55], s[20:21]
	s_cbranch_execz .LBB4_255
; %bb.254:                              ;   in Loop: Header=BB4_114 Depth=3
	v_and_b32_e32 v17, 7, v24
	v_ffbh_u32_e32 v26, v17
	v_min_u32_e32 v37, 32, v26
	v_subrev_u32_e32 v26, 28, v37
	v_lshlrev_b64 v[26:27], v26, v[24:25]
	v_lshrrev_b32_e32 v36, 3, v16
	v_sub_u32_e32 v27, 29, v37
	v_and_b32_e32 v26, 7, v26
	v_cmp_gt_u32_e64 s[20:21], 8, v16
	v_cndmask_b32_e64 v16, v36, v27, s[20:21]
	v_cndmask_b32_e64 v17, v17, v26, s[20:21]
	v_lshlrev_b32_e32 v24, 24, v24
	v_lshlrev_b32_e32 v17, 20, v17
	v_and_b32_e32 v24, 0x80000000, v24
	v_lshl_add_u32 v16, v16, 23, v46
	v_or3_b32 v17, v24, v16, v17
.LBB4_255:                              ;   in Loop: Header=BB4_114 Depth=3
	s_or_b64 exec, exec, s[54:55]
.LBB4_256:                              ;   in Loop: Header=BB4_114 Depth=3
	s_or_b64 exec, exec, s[52:53]
.LBB4_257:                              ;   in Loop: Header=BB4_114 Depth=3
	s_or_b64 exec, exec, s[50:51]
	v_cmp_lt_u32_e64 s[20:21], s66, v22
	s_and_saveexec_b64 s[50:51], s[20:21]
	s_cbranch_execz .LBB4_263
; %bb.258:                              ;   in Loop: Header=BB4_114 Depth=3
	v_cmp_ne_u32_sdwa s[20:21], v22, s63 src0_sel:BYTE_3 src1_sel:DWORD
	v_bfrev_b32_e32 v25, 1
	s_and_saveexec_b64 s[52:53], s[20:21]
	s_cbranch_execz .LBB4_262
; %bb.259:                              ;   in Loop: Header=BB4_114 Depth=3
	v_bfe_u32 v16, v22, 24, 7
	v_cmp_ne_u32_e64 s[20:21], s64, v16
	v_mov_b32_e32 v25, 0x7f800001
	s_and_saveexec_b64 s[54:55], s[20:21]
	s_cbranch_execz .LBB4_261
; %bb.260:                              ;   in Loop: Header=BB4_114 Depth=3
	v_and_b32_e32 v26, 7, v2
	v_ffbh_u32_e32 v24, v26
	v_min_u32_e32 v36, 32, v24
	v_subrev_u32_e32 v24, 28, v36
	v_lshlrev_b64 v[24:25], v24, v[2:3]
	v_lshrrev_b32_e32 v27, 3, v16
	v_sub_u32_e32 v2, 29, v36
	v_and_b32_e32 v24, 7, v24
	v_cmp_gt_u32_e64 s[20:21], 8, v16
	v_cndmask_b32_e64 v2, v27, v2, s[20:21]
	v_cndmask_b32_e64 v16, v26, v24, s[20:21]
	v_lshlrev_b32_sdwa v22, v6, v22 dst_sel:DWORD dst_unused:UNUSED_PAD src0_sel:DWORD src1_sel:BYTE_3
	v_lshlrev_b32_e32 v16, 20, v16
	v_and_b32_e32 v22, 0x80000000, v22
	v_lshl_add_u32 v2, v2, 23, v46
	v_or3_b32 v25, v22, v2, v16
.LBB4_261:                              ;   in Loop: Header=BB4_114 Depth=3
	s_or_b64 exec, exec, s[54:55]
.LBB4_262:                              ;   in Loop: Header=BB4_114 Depth=3
	s_or_b64 exec, exec, s[52:53]
.LBB4_263:                              ;   in Loop: Header=BB4_114 Depth=3
	s_or_b64 exec, exec, s[50:51]
	v_max_f32_e32 v2, v25, v25
	v_max_f32_e32 v16, v17, v17
	;; [unrolled: 1-line block ×3, first 2 shown]
                                        ; implicit-def: $vgpr24
                                        ; implicit-def: $vgpr2
.LBB4_264:                              ;   in Loop: Header=BB4_114 Depth=3
	s_andn2_saveexec_b64 s[20:21], s[48:49]
	s_cbranch_execz .LBB4_278
; %bb.265:                              ;   in Loop: Header=BB4_114 Depth=3
	v_mov_b32_e32 v25, 0
	v_mov_b32_e32 v17, 0
	s_and_saveexec_b64 s[48:49], vcc
	s_cbranch_execz .LBB4_271
; %bb.266:                              ;   in Loop: Header=BB4_114 Depth=3
	v_cmp_ne_u32_e32 vcc, s63, v24
	v_bfrev_b32_e32 v17, 1
	s_and_saveexec_b64 s[50:51], vcc
	s_cbranch_execz .LBB4_270
; %bb.267:                              ;   in Loop: Header=BB4_114 Depth=3
	v_bfe_u32 v16, v16, 24, 7
	v_cmp_ne_u32_e32 vcc, s64, v16
	v_mov_b32_e32 v17, 0x7f800001
	s_and_saveexec_b64 s[52:53], vcc
	s_cbranch_execz .LBB4_269
; %bb.268:                              ;   in Loop: Header=BB4_114 Depth=3
	v_and_b32_e32 v17, 7, v24
	v_ffbh_u32_e32 v26, v17
	v_min_u32_e32 v37, 32, v26
	v_subrev_u32_e32 v26, 28, v37
	v_lshlrev_b64 v[26:27], v26, v[24:25]
	v_lshrrev_b32_e32 v36, 3, v16
	v_sub_u32_e32 v27, 29, v37
	v_and_b32_e32 v26, 7, v26
	v_cmp_gt_u32_e32 vcc, 8, v16
	v_cndmask_b32_e32 v16, v36, v27, vcc
	v_cndmask_b32_e32 v17, v17, v26, vcc
	v_lshlrev_b32_e32 v24, 24, v24
	v_lshlrev_b32_e32 v17, 20, v17
	v_and_b32_e32 v24, 0x80000000, v24
	v_lshl_add_u32 v16, v16, 23, v46
	v_or3_b32 v17, v24, v16, v17
.LBB4_269:                              ;   in Loop: Header=BB4_114 Depth=3
	s_or_b64 exec, exec, s[52:53]
.LBB4_270:                              ;   in Loop: Header=BB4_114 Depth=3
	s_or_b64 exec, exec, s[50:51]
.LBB4_271:                              ;   in Loop: Header=BB4_114 Depth=3
	s_or_b64 exec, exec, s[48:49]
	v_cmp_lt_u32_e32 vcc, s66, v22
	s_and_saveexec_b64 s[48:49], vcc
	s_cbranch_execz .LBB4_277
; %bb.272:                              ;   in Loop: Header=BB4_114 Depth=3
	v_cmp_ne_u32_sdwa vcc, v22, s63 src0_sel:BYTE_3 src1_sel:DWORD
	v_bfrev_b32_e32 v25, 1
	s_and_saveexec_b64 s[50:51], vcc
	s_cbranch_execz .LBB4_276
; %bb.273:                              ;   in Loop: Header=BB4_114 Depth=3
	v_bfe_u32 v16, v22, 24, 7
	v_cmp_ne_u32_e32 vcc, s64, v16
	v_mov_b32_e32 v25, 0x7f800001
	s_and_saveexec_b64 s[52:53], vcc
	s_cbranch_execz .LBB4_275
; %bb.274:                              ;   in Loop: Header=BB4_114 Depth=3
	v_and_b32_e32 v26, 7, v2
	v_ffbh_u32_e32 v24, v26
	v_min_u32_e32 v36, 32, v24
	v_subrev_u32_e32 v24, 28, v36
	v_lshlrev_b64 v[24:25], v24, v[2:3]
	v_lshrrev_b32_e32 v27, 3, v16
	v_sub_u32_e32 v2, 29, v36
	v_and_b32_e32 v24, 7, v24
	v_cmp_gt_u32_e32 vcc, 8, v16
	v_cndmask_b32_e32 v2, v27, v2, vcc
	v_cndmask_b32_e32 v16, v26, v24, vcc
	v_lshlrev_b32_sdwa v22, v6, v22 dst_sel:DWORD dst_unused:UNUSED_PAD src0_sel:DWORD src1_sel:BYTE_3
	v_lshlrev_b32_e32 v16, 20, v16
	v_and_b32_e32 v22, 0x80000000, v22
	v_lshl_add_u32 v2, v2, 23, v46
	v_or3_b32 v25, v22, v2, v16
.LBB4_275:                              ;   in Loop: Header=BB4_114 Depth=3
	s_or_b64 exec, exec, s[52:53]
.LBB4_276:                              ;   in Loop: Header=BB4_114 Depth=3
	s_or_b64 exec, exec, s[50:51]
.LBB4_277:                              ;   in Loop: Header=BB4_114 Depth=3
	s_or_b64 exec, exec, s[48:49]
	v_max_f32_e32 v2, v25, v25
	v_max_f32_e32 v16, v17, v17
	v_min_f32_e32 v17, v16, v2
.LBB4_278:                              ;   in Loop: Header=BB4_114 Depth=3
	s_or_b64 exec, exec, s[20:21]
	v_and_b32_sdwa v2, v17, s63 dst_sel:DWORD dst_unused:UNUSED_PAD src0_sel:BYTE_3 src1_sel:DWORD
	v_and_b32_e32 v26, 0x7f800000, v17
	v_mov_b32_e32 v27, v23
	v_and_b32_e32 v22, 0x7fffff, v17
	v_or_b32_e32 v24, 0x7e, v2
	v_cmp_ne_u64_e32 vcc, s[38:39], v[26:27]
	s_and_saveexec_b64 s[20:21], vcc
	s_xor_b64 s[48:49], exec, s[20:21]
	s_cbranch_execz .LBB4_288
; %bb.279:                              ;   in Loop: Header=BB4_114 Depth=3
	v_and_b32_e32 v26, 0x7fffffff, v17
	v_mov_b32_e32 v27, v23
	v_cmp_gt_u64_e32 vcc, s[40:41], v[26:27]
	s_and_saveexec_b64 s[50:51], vcc
	s_cbranch_execz .LBB4_287
; %bb.280:                              ;   in Loop: Header=BB4_114 Depth=3
	v_cmp_ne_u32_e32 vcc, 0, v17
	v_mov_b32_e32 v24, 0
	s_and_saveexec_b64 s[52:53], vcc
	s_cbranch_execz .LBB4_286
; %bb.281:                              ;   in Loop: Header=BB4_114 Depth=3
	v_bfe_u32 v16, v17, 23, 8
	v_sub_u32_e32 v24, 0x79, v16
	v_cmp_gt_u32_e32 vcc, s65, v16
	v_cndmask_b32_e32 v24, 0, v24, vcc
	v_cmp_eq_u32_e32 vcc, 0, v16
	v_cndmask_b32_e32 v24, v24, v30, vcc
	v_add_u32_e32 v17, 0xffffff81, v16
	v_or_b32_e32 v25, 0x800000, v22
	v_add_u32_e32 v16, 20, v24
	v_cndmask_b32_e32 v40, v17, v47, vcc
	v_cndmask_b32_e32 v22, v25, v22, vcc
	v_lshlrev_b64 v[16:17], v16, -1
	v_not_b32_e32 v16, v16
	v_lshrrev_b64 v[36:37], v24, v[22:23]
	v_not_b32_e32 v17, v17
	v_and_b32_e32 v16, v22, v16
	v_add_u32_e32 v25, 19, v24
	v_lshrrev_b32_e32 v22, 23, v36
	v_and_b32_e32 v17, 0, v17
	v_lshlrev_b64 v[26:27], v25, 1
	v_add3_u32 v40, v24, v40, v22
	v_bfe_u32 v22, v36, 20, 1
	v_add_u32_e32 v22, -1, v22
	v_cmp_eq_u64_e32 vcc, v[16:17], v[26:27]
	v_cndmask_b32_e32 v16, 0, v22, vcc
	v_add_u32_e32 v16, v16, v36
	v_and_b32_e32 v16, 0xfffff, v16
	v_add_co_u32_e32 v16, vcc, v16, v36
	v_add_u32_e32 v25, 6, v40
	v_addc_co_u32_e32 v17, vcc, 0, v37, vcc
	v_cmp_ne_u32_e32 vcc, 0, v25
                                        ; implicit-def: $vgpr24
	s_and_saveexec_b64 s[20:21], vcc
	s_xor_b64 s[20:21], exec, s[20:21]
; %bb.282:                              ;   in Loop: Header=BB4_114 Depth=3
	v_add_u32_e32 v22, 7, v40
	v_cmp_lt_u64_e32 vcc, s[42:43], v[16:17]
	v_cndmask_b32_e32 v24, v25, v22, vcc
	v_cndmask_b32_e64 v22, 0, 1, vcc
	v_lshrrev_b64 v[16:17], v22, v[16:17]
; %bb.283:                              ;   in Loop: Header=BB4_114 Depth=3
	s_andn2_saveexec_b64 s[20:21], s[20:21]
; %bb.284:                              ;   in Loop: Header=BB4_114 Depth=3
	v_bfe_u32 v24, v16, 23, 1
; %bb.285:                              ;   in Loop: Header=BB4_114 Depth=3
	s_or_b64 exec, exec, s[20:21]
	v_lshrrev_b64 v[16:17], 20, v[16:17]
	v_cmp_gt_i32_e32 vcc, 16, v24
	v_cndmask_b32_e32 v17, 0, v17, vcc
	v_cndmask_b32_e32 v16, 7, v16, vcc
	v_cmp_eq_u64_e64 s[20:21], 0, v[16:17]
	v_min_i32_e32 v17, 15, v24
	v_cmp_eq_u32_e32 vcc, 0, v24
	v_lshlrev_b32_e32 v17, 3, v17
	v_and_or_b32 v16, v16, 7, v17
	s_and_b64 s[20:21], vcc, s[20:21]
	v_cndmask_b32_e64 v16, v16, 0, s[20:21]
	v_or_b32_e32 v24, v16, v2
.LBB4_286:                              ;   in Loop: Header=BB4_114 Depth=3
	s_or_b64 exec, exec, s[52:53]
.LBB4_287:                              ;   in Loop: Header=BB4_114 Depth=3
	s_or_b64 exec, exec, s[50:51]
                                        ; implicit-def: $vgpr17
.LBB4_288:                              ;   in Loop: Header=BB4_114 Depth=3
	s_andn2_saveexec_b64 s[20:21], s[48:49]
; %bb.289:                              ;   in Loop: Header=BB4_114 Depth=3
	v_or_b32_sdwa v2, v17, s64 dst_sel:DWORD dst_unused:UNUSED_PAD src0_sel:BYTE_3 src1_sel:DWORD
	v_cmp_eq_u64_e32 vcc, 0, v[22:23]
	v_cndmask_b32_e32 v24, v2, v24, vcc
; %bb.290:                              ;   in Loop: Header=BB4_114 Depth=3
	s_or_b64 exec, exec, s[20:21]
	v_alignbit_b32 v22, v60, v61, v19
	v_mov_b32_e32 v19, v23
	v_cmp_ne_u16_sdwa s[20:21], v18, v23 src0_sel:BYTE_0 src1_sel:DWORD
                                        ; implicit-def: $vgpr60
	s_and_saveexec_b64 vcc, s[14:15]
	s_xor_b64 s[48:49], exec, vcc
	s_cbranch_execz .LBB4_304
; %bb.291:                              ;   in Loop: Header=BB4_114 Depth=3
	v_mov_b32_e32 v16, 0
	v_mov_b32_e32 v2, 0
	s_and_saveexec_b64 s[50:51], s[20:21]
	s_cbranch_execz .LBB4_297
; %bb.292:                              ;   in Loop: Header=BB4_114 Depth=3
	v_cmp_ne_u16_sdwa vcc, v18, s63 src0_sel:BYTE_0 src1_sel:DWORD
	v_bfrev_b32_e32 v2, 1
	s_and_saveexec_b64 s[52:53], vcc
	s_cbranch_execz .LBB4_296
; %bb.293:                              ;   in Loop: Header=BB4_114 Depth=3
	v_and_b32_e32 v17, 0x7f, v18
	v_cmp_ne_u32_e32 vcc, s64, v17
	v_mov_b32_e32 v2, 0x7f800001
	s_and_saveexec_b64 s[54:55], vcc
	s_cbranch_execz .LBB4_295
; %bb.294:                              ;   in Loop: Header=BB4_114 Depth=3
	v_and_b32_e32 v2, 7, v18
	v_ffbh_u32_e32 v2, v2
	v_min_u32_e32 v2, 32, v2
	v_subrev_u32_e32 v26, 28, v2
	v_cmp_gt_u32_e32 vcc, 8, v17
	v_lshrrev_b32_e32 v25, 3, v17
	v_cndmask_b32_e32 v17, 0, v26, vcc
	v_sub_u32_e32 v2, 29, v2
	v_lshlrev_b64 v[26:27], v17, v[18:19]
	v_cndmask_b32_e32 v2, v25, v2, vcc
	v_lshlrev_b32_e32 v17, 20, v26
	v_lshlrev_b32_e32 v19, 24, v18
	v_and_b32_e32 v17, 0x700000, v17
	v_and_b32_e32 v19, 0x80000000, v19
	v_lshl_add_u32 v2, v2, 23, v46
	v_or3_b32 v2, v19, v2, v17
.LBB4_295:                              ;   in Loop: Header=BB4_114 Depth=3
	s_or_b64 exec, exec, s[54:55]
.LBB4_296:                              ;   in Loop: Header=BB4_114 Depth=3
	s_or_b64 exec, exec, s[52:53]
.LBB4_297:                              ;   in Loop: Header=BB4_114 Depth=3
	s_or_b64 exec, exec, s[50:51]
	v_cmp_ne_u16_sdwa vcc, v22, v23 src0_sel:BYTE_0 src1_sel:DWORD
	s_and_saveexec_b64 s[50:51], vcc
	s_cbranch_execz .LBB4_303
; %bb.298:                              ;   in Loop: Header=BB4_114 Depth=3
	v_cmp_ne_u16_sdwa vcc, v22, s63 src0_sel:BYTE_0 src1_sel:DWORD
	v_bfrev_b32_e32 v16, 1
	s_and_saveexec_b64 s[52:53], vcc
	s_cbranch_execz .LBB4_302
; %bb.299:                              ;   in Loop: Header=BB4_114 Depth=3
	v_and_b32_e32 v17, 0x7f, v22
	v_cmp_ne_u32_e32 vcc, s64, v17
	v_mov_b32_e32 v16, 0x7f800001
	s_and_saveexec_b64 s[54:55], vcc
	s_cbranch_execz .LBB4_301
; %bb.300:                              ;   in Loop: Header=BB4_114 Depth=3
	v_and_b32_e32 v16, 7, v22
	v_ffbh_u32_e32 v16, v16
	v_min_u32_e32 v16, 32, v16
	v_lshrrev_b32_e32 v19, 3, v17
	v_subrev_u32_e32 v25, 28, v16
	v_sub_u32_e32 v16, 29, v16
	v_cmp_gt_u32_e32 vcc, 8, v17
	v_cndmask_b32_e32 v19, v19, v16, vcc
	v_cndmask_b32_e32 v16, 0, v25, vcc
	v_lshlrev_b64 v[16:17], v16, v[22:23]
	v_lshlrev_b32_e32 v16, 20, v16
	v_lshlrev_b32_e32 v17, 24, v22
	v_and_b32_e32 v16, 0x700000, v16
	v_and_b32_e32 v17, 0x80000000, v17
	v_lshl_add_u32 v19, v19, 23, v46
	v_or3_b32 v16, v17, v19, v16
.LBB4_301:                              ;   in Loop: Header=BB4_114 Depth=3
	s_or_b64 exec, exec, s[54:55]
.LBB4_302:                              ;   in Loop: Header=BB4_114 Depth=3
	s_or_b64 exec, exec, s[52:53]
.LBB4_303:                              ;   in Loop: Header=BB4_114 Depth=3
	s_or_b64 exec, exec, s[50:51]
	v_max_f32_e32 v16, v16, v16
	v_max_f32_e32 v2, v2, v2
	;; [unrolled: 1-line block ×3, first 2 shown]
.LBB4_304:                              ;   in Loop: Header=BB4_114 Depth=3
	s_andn2_saveexec_b64 s[48:49], s[48:49]
	s_cbranch_execz .LBB4_318
; %bb.305:                              ;   in Loop: Header=BB4_114 Depth=3
	v_mov_b32_e32 v16, 0
	v_mov_b32_e32 v2, 0
	s_and_saveexec_b64 s[50:51], s[20:21]
	s_cbranch_execz .LBB4_311
; %bb.306:                              ;   in Loop: Header=BB4_114 Depth=3
	v_cmp_ne_u16_sdwa vcc, v18, s63 src0_sel:BYTE_0 src1_sel:DWORD
	v_bfrev_b32_e32 v2, 1
	s_and_saveexec_b64 s[20:21], vcc
	s_cbranch_execz .LBB4_310
; %bb.307:                              ;   in Loop: Header=BB4_114 Depth=3
	v_and_b32_e32 v17, 0x7f, v18
	v_cmp_ne_u32_e32 vcc, s64, v17
	v_mov_b32_e32 v2, 0x7f800001
	s_and_saveexec_b64 s[52:53], vcc
	s_cbranch_execz .LBB4_309
; %bb.308:                              ;   in Loop: Header=BB4_114 Depth=3
	v_and_b32_e32 v2, 7, v18
	v_ffbh_u32_e32 v2, v2
	v_min_u32_e32 v2, 32, v2
	v_subrev_u32_e32 v26, 28, v2
	v_cmp_gt_u32_e32 vcc, 8, v17
	v_lshrrev_b32_e32 v25, 3, v17
	v_cndmask_b32_e32 v17, 0, v26, vcc
	v_sub_u32_e32 v2, 29, v2
	v_lshlrev_b64 v[26:27], v17, v[18:19]
	v_cndmask_b32_e32 v2, v25, v2, vcc
	v_lshlrev_b32_e32 v17, 20, v26
	v_lshlrev_b32_e32 v19, 24, v18
	v_and_b32_e32 v17, 0x700000, v17
	v_and_b32_e32 v19, 0x80000000, v19
	v_lshl_add_u32 v2, v2, 23, v46
	v_or3_b32 v2, v19, v2, v17
.LBB4_309:                              ;   in Loop: Header=BB4_114 Depth=3
	s_or_b64 exec, exec, s[52:53]
.LBB4_310:                              ;   in Loop: Header=BB4_114 Depth=3
	s_or_b64 exec, exec, s[20:21]
.LBB4_311:                              ;   in Loop: Header=BB4_114 Depth=3
	s_or_b64 exec, exec, s[50:51]
	v_cmp_ne_u16_sdwa vcc, v22, v23 src0_sel:BYTE_0 src1_sel:DWORD
	s_and_saveexec_b64 s[20:21], vcc
	s_cbranch_execz .LBB4_317
; %bb.312:                              ;   in Loop: Header=BB4_114 Depth=3
	v_cmp_ne_u16_sdwa vcc, v22, s63 src0_sel:BYTE_0 src1_sel:DWORD
	v_bfrev_b32_e32 v16, 1
	s_and_saveexec_b64 s[50:51], vcc
	s_cbranch_execz .LBB4_316
; %bb.313:                              ;   in Loop: Header=BB4_114 Depth=3
	v_and_b32_e32 v17, 0x7f, v22
	v_cmp_ne_u32_e32 vcc, s64, v17
	v_mov_b32_e32 v16, 0x7f800001
	s_and_saveexec_b64 s[52:53], vcc
	s_cbranch_execz .LBB4_315
; %bb.314:                              ;   in Loop: Header=BB4_114 Depth=3
	v_and_b32_e32 v16, 7, v22
	v_ffbh_u32_e32 v16, v16
	v_min_u32_e32 v16, 32, v16
	v_lshrrev_b32_e32 v19, 3, v17
	v_subrev_u32_e32 v25, 28, v16
	v_sub_u32_e32 v16, 29, v16
	v_cmp_gt_u32_e32 vcc, 8, v17
	v_cndmask_b32_e32 v19, v19, v16, vcc
	v_cndmask_b32_e32 v16, 0, v25, vcc
	v_lshlrev_b64 v[16:17], v16, v[22:23]
	v_lshlrev_b32_e32 v16, 20, v16
	v_lshlrev_b32_e32 v17, 24, v22
	v_and_b32_e32 v16, 0x700000, v16
	v_and_b32_e32 v17, 0x80000000, v17
	v_lshl_add_u32 v19, v19, 23, v46
	v_or3_b32 v16, v17, v19, v16
.LBB4_315:                              ;   in Loop: Header=BB4_114 Depth=3
	s_or_b64 exec, exec, s[52:53]
.LBB4_316:                              ;   in Loop: Header=BB4_114 Depth=3
	s_or_b64 exec, exec, s[50:51]
.LBB4_317:                              ;   in Loop: Header=BB4_114 Depth=3
	s_or_b64 exec, exec, s[20:21]
	v_max_f32_e32 v16, v16, v16
	v_max_f32_e32 v2, v2, v2
	v_min_f32_e32 v60, v2, v16
.LBB4_318:                              ;   in Loop: Header=BB4_114 Depth=3
	s_or_b64 exec, exec, s[48:49]
	v_and_b32_sdwa v2, v60, s63 dst_sel:DWORD dst_unused:UNUSED_PAD src0_sel:BYTE_3 src1_sel:DWORD
	v_and_b32_e32 v26, 0x7f800000, v60
	v_mov_b32_e32 v27, v23
	v_and_b32_e32 v16, 0x7fffff, v60
	v_mov_b32_e32 v17, v23
	v_or_b32_e32 v25, 0x7e, v2
	v_cmp_ne_u64_e32 vcc, s[38:39], v[26:27]
	s_and_saveexec_b64 s[20:21], vcc
	s_xor_b64 s[48:49], exec, s[20:21]
	s_cbranch_execz .LBB4_328
; %bb.319:                              ;   in Loop: Header=BB4_114 Depth=3
	v_and_b32_e32 v26, 0x7fffffff, v60
	v_mov_b32_e32 v27, v23
	v_cmp_gt_u64_e32 vcc, s[40:41], v[26:27]
	s_and_saveexec_b64 s[50:51], vcc
	s_cbranch_execz .LBB4_327
; %bb.320:                              ;   in Loop: Header=BB4_114 Depth=3
	v_cmp_ne_u32_e32 vcc, 0, v60
	v_mov_b32_e32 v25, 0
	s_and_saveexec_b64 s[52:53], vcc
	s_cbranch_execz .LBB4_326
; %bb.321:                              ;   in Loop: Header=BB4_114 Depth=3
	v_bfe_u32 v19, v60, 23, 8
	v_sub_u32_e32 v26, 0x79, v19
	v_cmp_gt_u32_e32 vcc, s65, v19
	v_add_u32_e32 v25, 0xffffff81, v19
	v_cndmask_b32_e32 v26, 0, v26, vcc
	v_cmp_eq_u32_e32 vcc, 0, v19
	v_cndmask_b32_e32 v19, v25, v47, vcc
	v_cndmask_b32_e32 v25, v26, v30, vcc
	v_or_b32_e32 v27, 0x800000, v16
	v_add_u32_e32 v26, 20, v25
	v_cndmask_b32_e32 v16, v27, v16, vcc
	v_lshlrev_b64 v[26:27], v26, -1
	v_not_b32_e32 v26, v26
	v_and_b32_e32 v26, v16, v26
	v_lshrrev_b64 v[16:17], v25, v[16:17]
	v_not_b32_e32 v27, v27
	v_add_u32_e32 v36, 19, v25
	v_lshrrev_b32_e32 v40, 23, v16
	v_and_b32_e32 v27, 0, v27
	v_lshlrev_b64 v[36:37], v36, 1
	v_add3_u32 v60, v25, v19, v40
	v_bfe_u32 v19, v16, 20, 1
	v_add_u32_e32 v19, -1, v19
	v_cmp_eq_u64_e32 vcc, v[26:27], v[36:37]
	v_cndmask_b32_e32 v19, 0, v19, vcc
	v_add_u32_e32 v19, v19, v16
	v_and_b32_e32 v19, 0xfffff, v19
	v_add_co_u32_e32 v16, vcc, v19, v16
	v_add_u32_e32 v25, 6, v60
	v_addc_co_u32_e32 v17, vcc, 0, v17, vcc
	v_cmp_ne_u32_e32 vcc, 0, v25
                                        ; implicit-def: $vgpr19
	s_and_saveexec_b64 s[20:21], vcc
	s_xor_b64 s[20:21], exec, s[20:21]
; %bb.322:                              ;   in Loop: Header=BB4_114 Depth=3
	v_add_u32_e32 v19, 7, v60
	v_cmp_lt_u64_e32 vcc, s[42:43], v[16:17]
	v_cndmask_b32_e32 v19, v25, v19, vcc
	v_cndmask_b32_e64 v25, 0, 1, vcc
	v_lshrrev_b64 v[16:17], v25, v[16:17]
; %bb.323:                              ;   in Loop: Header=BB4_114 Depth=3
	s_andn2_saveexec_b64 s[20:21], s[20:21]
; %bb.324:                              ;   in Loop: Header=BB4_114 Depth=3
	v_bfe_u32 v19, v16, 23, 1
; %bb.325:                              ;   in Loop: Header=BB4_114 Depth=3
	s_or_b64 exec, exec, s[20:21]
	v_lshrrev_b64 v[16:17], 20, v[16:17]
	v_cmp_gt_i32_e32 vcc, 16, v19
	v_cndmask_b32_e32 v17, 0, v17, vcc
	v_cndmask_b32_e32 v16, 7, v16, vcc
	v_cmp_eq_u64_e64 s[20:21], 0, v[16:17]
	v_min_i32_e32 v17, 15, v19
	v_cmp_eq_u32_e32 vcc, 0, v19
	v_lshlrev_b32_e32 v17, 3, v17
	v_and_or_b32 v16, v16, 7, v17
	s_and_b64 s[20:21], vcc, s[20:21]
	v_cndmask_b32_e64 v16, v16, 0, s[20:21]
	v_or_b32_e32 v25, v16, v2
.LBB4_326:                              ;   in Loop: Header=BB4_114 Depth=3
	s_or_b64 exec, exec, s[52:53]
.LBB4_327:                              ;   in Loop: Header=BB4_114 Depth=3
	s_or_b64 exec, exec, s[50:51]
                                        ; implicit-def: $vgpr60
                                        ; implicit-def: $vgpr16_vgpr17
.LBB4_328:                              ;   in Loop: Header=BB4_114 Depth=3
	s_andn2_saveexec_b64 s[20:21], s[48:49]
; %bb.329:                              ;   in Loop: Header=BB4_114 Depth=3
	v_or_b32_sdwa v2, v60, s64 dst_sel:DWORD dst_unused:UNUSED_PAD src0_sel:BYTE_3 src1_sel:DWORD
	v_cmp_eq_u64_e32 vcc, 0, v[16:17]
	v_cndmask_b32_e32 v25, v2, v25, vcc
; %bb.330:                              ;   in Loop: Header=BB4_114 Depth=3
	s_or_b64 exec, exec, s[20:21]
	v_lshrrev_b16_e32 v16, 8, v18
	v_lshrrev_b16_e32 v2, 8, v22
	v_cmp_ne_u16_e32 vcc, 0, v16
                                        ; implicit-def: $vgpr19
	s_and_saveexec_b64 s[20:21], s[14:15]
	s_xor_b64 s[48:49], exec, s[20:21]
	s_cbranch_execz .LBB4_344
; %bb.331:                              ;   in Loop: Header=BB4_114 Depth=3
	v_mov_b32_e32 v19, 0
	v_mov_b32_e32 v17, 0
	s_and_saveexec_b64 s[50:51], vcc
	s_cbranch_execz .LBB4_337
; %bb.332:                              ;   in Loop: Header=BB4_114 Depth=3
	v_cmp_ne_u16_e64 s[20:21], s63, v16
	v_bfrev_b32_e32 v17, 1
	s_and_saveexec_b64 s[52:53], s[20:21]
	s_cbranch_execz .LBB4_336
; %bb.333:                              ;   in Loop: Header=BB4_114 Depth=3
	v_and_b32_e32 v60, 0x7f, v16
	v_cmp_ne_u32_e64 s[20:21], s64, v60
	v_mov_b32_e32 v17, 0x7f800001
	s_and_saveexec_b64 s[54:55], s[20:21]
	s_cbranch_execz .LBB4_335
; %bb.334:                              ;   in Loop: Header=BB4_114 Depth=3
	v_and_b32_e32 v26, 7, v16
	v_ffbh_u32_e32 v17, v26
	v_min_u32_e32 v36, 32, v17
	v_subrev_u32_e32 v17, 28, v36
	v_lshlrev_b64 v[16:17], v17, v[16:17]
	v_lshrrev_b32_e32 v27, 3, v60
	v_sub_u32_e32 v17, 29, v36
	v_and_b32_e32 v16, 7, v16
	v_cmp_gt_u32_e64 s[20:21], 8, v60
	v_cndmask_b32_e64 v17, v27, v17, s[20:21]
	v_cndmask_b32_e64 v16, v26, v16, s[20:21]
	v_lshlrev_b32_e32 v26, 16, v18
	v_lshlrev_b32_e32 v16, 20, v16
	v_and_b32_e32 v26, 0x80000000, v26
	v_lshl_add_u32 v17, v17, 23, v46
	v_or3_b32 v17, v26, v17, v16
.LBB4_335:                              ;   in Loop: Header=BB4_114 Depth=3
	s_or_b64 exec, exec, s[54:55]
.LBB4_336:                              ;   in Loop: Header=BB4_114 Depth=3
	s_or_b64 exec, exec, s[52:53]
.LBB4_337:                              ;   in Loop: Header=BB4_114 Depth=3
	s_or_b64 exec, exec, s[50:51]
	v_cmp_ne_u16_e64 s[20:21], 0, v2
	s_and_saveexec_b64 s[50:51], s[20:21]
	s_cbranch_execz .LBB4_343
; %bb.338:                              ;   in Loop: Header=BB4_114 Depth=3
	v_cmp_ne_u16_e64 s[20:21], s63, v2
	v_bfrev_b32_e32 v19, 1
	s_and_saveexec_b64 s[52:53], s[20:21]
	s_cbranch_execz .LBB4_342
; %bb.339:                              ;   in Loop: Header=BB4_114 Depth=3
	v_and_b32_e32 v16, 0x7f, v2
	v_cmp_ne_u32_e64 s[20:21], s64, v16
	v_mov_b32_e32 v19, 0x7f800001
	s_and_saveexec_b64 s[54:55], s[20:21]
	s_cbranch_execz .LBB4_341
; %bb.340:                              ;   in Loop: Header=BB4_114 Depth=3
	v_and_b32_e32 v19, 7, v2
	v_ffbh_u32_e32 v26, v19
	v_min_u32_e32 v37, 32, v26
	v_subrev_u32_e32 v26, 28, v37
	v_lshlrev_b64 v[26:27], v26, v[2:3]
	v_lshrrev_b32_e32 v36, 3, v16
	v_sub_u32_e32 v2, 29, v37
	v_and_b32_e32 v26, 7, v26
	v_cmp_gt_u32_e64 s[20:21], 8, v16
	v_cndmask_b32_e64 v2, v36, v2, s[20:21]
	v_cndmask_b32_e64 v16, v19, v26, s[20:21]
	v_lshlrev_b32_e32 v19, 16, v22
	v_lshlrev_b32_e32 v16, 20, v16
	v_and_b32_e32 v19, 0x80000000, v19
	v_lshl_add_u32 v2, v2, 23, v46
	v_or3_b32 v19, v19, v2, v16
.LBB4_341:                              ;   in Loop: Header=BB4_114 Depth=3
	s_or_b64 exec, exec, s[54:55]
.LBB4_342:                              ;   in Loop: Header=BB4_114 Depth=3
	s_or_b64 exec, exec, s[52:53]
.LBB4_343:                              ;   in Loop: Header=BB4_114 Depth=3
	s_or_b64 exec, exec, s[50:51]
	v_max_f32_e32 v2, v19, v19
	v_max_f32_e32 v16, v17, v17
	;; [unrolled: 1-line block ×3, first 2 shown]
                                        ; implicit-def: $vgpr2
                                        ; implicit-def: $vgpr16
.LBB4_344:                              ;   in Loop: Header=BB4_114 Depth=3
	s_andn2_saveexec_b64 s[20:21], s[48:49]
	s_cbranch_execz .LBB4_358
; %bb.345:                              ;   in Loop: Header=BB4_114 Depth=3
	v_mov_b32_e32 v19, 0
	v_mov_b32_e32 v17, 0
	s_and_saveexec_b64 s[48:49], vcc
	s_cbranch_execz .LBB4_351
; %bb.346:                              ;   in Loop: Header=BB4_114 Depth=3
	v_cmp_ne_u16_e32 vcc, s63, v16
	v_bfrev_b32_e32 v17, 1
	s_and_saveexec_b64 s[50:51], vcc
	s_cbranch_execz .LBB4_350
; %bb.347:                              ;   in Loop: Header=BB4_114 Depth=3
	v_and_b32_e32 v60, 0x7f, v16
	v_cmp_ne_u32_e32 vcc, s64, v60
	v_mov_b32_e32 v17, 0x7f800001
	s_and_saveexec_b64 s[52:53], vcc
	s_cbranch_execz .LBB4_349
; %bb.348:                              ;   in Loop: Header=BB4_114 Depth=3
	v_and_b32_e32 v26, 7, v16
	v_ffbh_u32_e32 v17, v26
	v_min_u32_e32 v36, 32, v17
	v_subrev_u32_e32 v17, 28, v36
	v_lshlrev_b64 v[16:17], v17, v[16:17]
	v_lshrrev_b32_e32 v27, 3, v60
	v_sub_u32_e32 v17, 29, v36
	v_and_b32_e32 v16, 7, v16
	v_cmp_gt_u32_e32 vcc, 8, v60
	v_cndmask_b32_e32 v17, v27, v17, vcc
	v_cndmask_b32_e32 v16, v26, v16, vcc
	v_lshlrev_b32_e32 v26, 16, v18
	v_lshlrev_b32_e32 v16, 20, v16
	v_and_b32_e32 v26, 0x80000000, v26
	v_lshl_add_u32 v17, v17, 23, v46
	v_or3_b32 v17, v26, v17, v16
.LBB4_349:                              ;   in Loop: Header=BB4_114 Depth=3
	s_or_b64 exec, exec, s[52:53]
.LBB4_350:                              ;   in Loop: Header=BB4_114 Depth=3
	s_or_b64 exec, exec, s[50:51]
.LBB4_351:                              ;   in Loop: Header=BB4_114 Depth=3
	s_or_b64 exec, exec, s[48:49]
	v_cmp_ne_u16_e32 vcc, 0, v2
	s_and_saveexec_b64 s[48:49], vcc
	s_cbranch_execz .LBB4_357
; %bb.352:                              ;   in Loop: Header=BB4_114 Depth=3
	v_cmp_ne_u16_e32 vcc, s63, v2
	v_bfrev_b32_e32 v19, 1
	s_and_saveexec_b64 s[50:51], vcc
	s_cbranch_execz .LBB4_356
; %bb.353:                              ;   in Loop: Header=BB4_114 Depth=3
	v_and_b32_e32 v16, 0x7f, v2
	v_cmp_ne_u32_e32 vcc, s64, v16
	v_mov_b32_e32 v19, 0x7f800001
	s_and_saveexec_b64 s[52:53], vcc
	s_cbranch_execz .LBB4_355
; %bb.354:                              ;   in Loop: Header=BB4_114 Depth=3
	v_and_b32_e32 v19, 7, v2
	v_ffbh_u32_e32 v26, v19
	v_min_u32_e32 v37, 32, v26
	v_subrev_u32_e32 v26, 28, v37
	v_lshlrev_b64 v[26:27], v26, v[2:3]
	v_lshrrev_b32_e32 v36, 3, v16
	v_sub_u32_e32 v2, 29, v37
	v_and_b32_e32 v26, 7, v26
	v_cmp_gt_u32_e32 vcc, 8, v16
	v_cndmask_b32_e32 v2, v36, v2, vcc
	v_cndmask_b32_e32 v16, v19, v26, vcc
	v_lshlrev_b32_e32 v19, 16, v22
	v_lshlrev_b32_e32 v16, 20, v16
	v_and_b32_e32 v19, 0x80000000, v19
	v_lshl_add_u32 v2, v2, 23, v46
	v_or3_b32 v19, v19, v2, v16
.LBB4_355:                              ;   in Loop: Header=BB4_114 Depth=3
	s_or_b64 exec, exec, s[52:53]
.LBB4_356:                              ;   in Loop: Header=BB4_114 Depth=3
	s_or_b64 exec, exec, s[50:51]
.LBB4_357:                              ;   in Loop: Header=BB4_114 Depth=3
	s_or_b64 exec, exec, s[48:49]
	v_max_f32_e32 v2, v19, v19
	v_max_f32_e32 v16, v17, v17
	v_min_f32_e32 v19, v16, v2
.LBB4_358:                              ;   in Loop: Header=BB4_114 Depth=3
	s_or_b64 exec, exec, s[20:21]
	v_and_b32_sdwa v2, v19, s63 dst_sel:DWORD dst_unused:UNUSED_PAD src0_sel:BYTE_3 src1_sel:DWORD
	v_and_b32_e32 v26, 0x7f800000, v19
	v_mov_b32_e32 v27, v23
	v_and_b32_e32 v16, 0x7fffff, v19
	v_mov_b32_e32 v17, v23
	v_or_b32_e32 v60, 0x7e, v2
	v_cmp_ne_u64_e32 vcc, s[38:39], v[26:27]
	s_and_saveexec_b64 s[20:21], vcc
	s_xor_b64 s[48:49], exec, s[20:21]
	s_cbranch_execz .LBB4_368
; %bb.359:                              ;   in Loop: Header=BB4_114 Depth=3
	v_and_b32_e32 v26, 0x7fffffff, v19
	v_mov_b32_e32 v27, v23
	v_cmp_gt_u64_e32 vcc, s[40:41], v[26:27]
	s_and_saveexec_b64 s[50:51], vcc
	s_cbranch_execz .LBB4_367
; %bb.360:                              ;   in Loop: Header=BB4_114 Depth=3
	v_cmp_ne_u32_e32 vcc, 0, v19
	v_mov_b32_e32 v60, 0
	s_and_saveexec_b64 s[52:53], vcc
	s_cbranch_execz .LBB4_366
; %bb.361:                              ;   in Loop: Header=BB4_114 Depth=3
	v_bfe_u32 v19, v19, 23, 8
	v_sub_u32_e32 v27, 0x79, v19
	v_cmp_gt_u32_e32 vcc, s65, v19
	v_cndmask_b32_e32 v27, 0, v27, vcc
	v_cmp_eq_u32_e32 vcc, 0, v19
	v_add_u32_e32 v26, 0xffffff81, v19
	v_cndmask_b32_e32 v40, v27, v30, vcc
	v_cndmask_b32_e32 v19, v26, v47, vcc
	v_add_u32_e32 v26, 20, v40
	v_or_b32_e32 v36, 0x800000, v16
	v_lshlrev_b64 v[26:27], v26, -1
	v_cndmask_b32_e32 v16, v36, v16, vcc
	v_not_b32_e32 v26, v26
	v_and_b32_e32 v26, v16, v26
	v_lshrrev_b64 v[16:17], v40, v[16:17]
	v_not_b32_e32 v27, v27
	v_add_u32_e32 v36, 19, v40
	v_lshrrev_b32_e32 v41, 23, v16
	v_and_b32_e32 v27, 0, v27
	v_lshlrev_b64 v[36:37], v36, 1
	v_add3_u32 v61, v40, v19, v41
	v_bfe_u32 v19, v16, 20, 1
	v_add_u32_e32 v19, -1, v19
	v_cmp_eq_u64_e32 vcc, v[26:27], v[36:37]
	v_cndmask_b32_e32 v19, 0, v19, vcc
	v_add_u32_e32 v19, v19, v16
	v_and_b32_e32 v19, 0xfffff, v19
	v_add_co_u32_e32 v16, vcc, v19, v16
	v_add_u32_e32 v60, 6, v61
	v_addc_co_u32_e32 v17, vcc, 0, v17, vcc
	v_cmp_ne_u32_e32 vcc, 0, v60
                                        ; implicit-def: $vgpr19
	s_and_saveexec_b64 s[20:21], vcc
	s_xor_b64 s[20:21], exec, s[20:21]
; %bb.362:                              ;   in Loop: Header=BB4_114 Depth=3
	v_cmp_lt_u64_e32 vcc, s[42:43], v[16:17]
	v_add_u32_e32 v19, 7, v61
	v_cndmask_b32_e64 v26, 0, 1, vcc
	v_cndmask_b32_e32 v19, v60, v19, vcc
	v_lshrrev_b64 v[16:17], v26, v[16:17]
; %bb.363:                              ;   in Loop: Header=BB4_114 Depth=3
	s_andn2_saveexec_b64 s[20:21], s[20:21]
; %bb.364:                              ;   in Loop: Header=BB4_114 Depth=3
	v_bfe_u32 v19, v16, 23, 1
; %bb.365:                              ;   in Loop: Header=BB4_114 Depth=3
	s_or_b64 exec, exec, s[20:21]
	v_lshrrev_b64 v[16:17], 20, v[16:17]
	v_cmp_gt_i32_e32 vcc, 16, v19
	v_cndmask_b32_e32 v17, 0, v17, vcc
	v_cndmask_b32_e32 v16, 7, v16, vcc
	v_cmp_eq_u64_e64 s[20:21], 0, v[16:17]
	v_min_i32_e32 v17, 15, v19
	v_cmp_eq_u32_e32 vcc, 0, v19
	v_lshlrev_b32_e32 v17, 3, v17
	v_and_or_b32 v16, v16, 7, v17
	s_and_b64 s[20:21], vcc, s[20:21]
	v_cndmask_b32_e64 v16, v16, 0, s[20:21]
	v_or_b32_e32 v60, v16, v2
.LBB4_366:                              ;   in Loop: Header=BB4_114 Depth=3
	s_or_b64 exec, exec, s[52:53]
.LBB4_367:                              ;   in Loop: Header=BB4_114 Depth=3
	s_or_b64 exec, exec, s[50:51]
                                        ; implicit-def: $vgpr19
                                        ; implicit-def: $vgpr16_vgpr17
.LBB4_368:                              ;   in Loop: Header=BB4_114 Depth=3
	s_andn2_saveexec_b64 s[20:21], s[48:49]
; %bb.369:                              ;   in Loop: Header=BB4_114 Depth=3
	v_or_b32_sdwa v2, v19, s64 dst_sel:DWORD dst_unused:UNUSED_PAD src0_sel:BYTE_3 src1_sel:DWORD
	v_cmp_eq_u64_e32 vcc, 0, v[16:17]
	v_cndmask_b32_e32 v60, v2, v60, vcc
; %bb.370:                              ;   in Loop: Header=BB4_114 Depth=3
	s_or_b64 exec, exec, s[20:21]
	v_lshrrev_b32_e32 v16, 16, v18
	v_lshrrev_b32_e32 v2, 16, v22
	v_cmp_ne_u16_sdwa s[20:21], v16, v23 src0_sel:BYTE_0 src1_sel:DWORD
                                        ; implicit-def: $vgpr19
	s_and_saveexec_b64 vcc, s[14:15]
	s_xor_b64 s[48:49], exec, vcc
	s_cbranch_execz .LBB4_384
; %bb.371:                              ;   in Loop: Header=BB4_114 Depth=3
	v_mov_b32_e32 v19, 0
	v_mov_b32_e32 v17, 0
	s_and_saveexec_b64 s[50:51], s[20:21]
	s_cbranch_execz .LBB4_377
; %bb.372:                              ;   in Loop: Header=BB4_114 Depth=3
	v_cmp_ne_u16_sdwa vcc, v16, s63 src0_sel:BYTE_0 src1_sel:DWORD
	v_bfrev_b32_e32 v17, 1
	s_and_saveexec_b64 s[52:53], vcc
	s_cbranch_execz .LBB4_376
; %bb.373:                              ;   in Loop: Header=BB4_114 Depth=3
	v_bfe_u32 v61, v18, 16, 7
	v_cmp_ne_u32_e32 vcc, s64, v61
	v_mov_b32_e32 v17, 0x7f800001
	s_and_saveexec_b64 s[54:55], vcc
	s_cbranch_execz .LBB4_375
; %bb.374:                              ;   in Loop: Header=BB4_114 Depth=3
	v_and_b32_e32 v17, 7, v16
	v_ffbh_u32_e32 v26, v17
	v_min_u32_e32 v37, 32, v26
	v_subrev_u32_e32 v26, 28, v37
	v_lshlrev_b64 v[26:27], v26, v[16:17]
	v_lshrrev_b32_e32 v36, 3, v61
	v_sub_u32_e32 v27, 29, v37
	v_and_b32_e32 v26, 7, v26
	v_cmp_gt_u32_e32 vcc, 8, v61
	v_cndmask_b32_e32 v27, v36, v27, vcc
	v_cndmask_b32_e32 v17, v17, v26, vcc
	v_lshlrev_b32_e32 v16, 24, v16
	v_lshlrev_b32_e32 v17, 20, v17
	v_and_b32_e32 v16, 0x80000000, v16
	v_lshl_add_u32 v26, v27, 23, v46
	v_or3_b32 v17, v16, v26, v17
.LBB4_375:                              ;   in Loop: Header=BB4_114 Depth=3
	s_or_b64 exec, exec, s[54:55]
.LBB4_376:                              ;   in Loop: Header=BB4_114 Depth=3
	s_or_b64 exec, exec, s[52:53]
.LBB4_377:                              ;   in Loop: Header=BB4_114 Depth=3
	s_or_b64 exec, exec, s[50:51]
	v_and_b32_sdwa v16, v22, s62 dst_sel:DWORD dst_unused:UNUSED_PAD src0_sel:WORD_1 src1_sel:DWORD
	v_cmp_ne_u16_e32 vcc, 0, v16
	s_and_saveexec_b64 s[50:51], vcc
	s_cbranch_execz .LBB4_383
; %bb.378:                              ;   in Loop: Header=BB4_114 Depth=3
	v_cmp_ne_u16_e32 vcc, s63, v16
	v_bfrev_b32_e32 v19, 1
	s_and_saveexec_b64 s[52:53], vcc
	s_cbranch_execz .LBB4_382
; %bb.379:                              ;   in Loop: Header=BB4_114 Depth=3
	v_bfe_u32 v16, v22, 16, 7
	v_cmp_ne_u32_e32 vcc, s64, v16
	v_mov_b32_e32 v19, 0x7f800001
	s_and_saveexec_b64 s[54:55], vcc
	s_cbranch_execz .LBB4_381
; %bb.380:                              ;   in Loop: Header=BB4_114 Depth=3
	v_and_b32_e32 v19, 7, v2
	v_ffbh_u32_e32 v26, v19
	v_min_u32_e32 v37, 32, v26
	v_subrev_u32_e32 v26, 28, v37
	v_lshlrev_b64 v[26:27], v26, v[2:3]
	v_lshrrev_b32_e32 v36, 3, v16
	v_sub_u32_e32 v2, 29, v37
	v_and_b32_e32 v26, 7, v26
	v_cmp_gt_u32_e32 vcc, 8, v16
	v_cndmask_b32_e32 v2, v36, v2, vcc
	v_cndmask_b32_e32 v16, v19, v26, vcc
	v_lshlrev_b32_sdwa v19, v6, v22 dst_sel:DWORD dst_unused:UNUSED_PAD src0_sel:DWORD src1_sel:WORD_1
	v_lshlrev_b32_e32 v16, 20, v16
	v_and_b32_e32 v19, 0x80000000, v19
	v_lshl_add_u32 v2, v2, 23, v46
	v_or3_b32 v19, v19, v2, v16
.LBB4_381:                              ;   in Loop: Header=BB4_114 Depth=3
	s_or_b64 exec, exec, s[54:55]
.LBB4_382:                              ;   in Loop: Header=BB4_114 Depth=3
	s_or_b64 exec, exec, s[52:53]
.LBB4_383:                              ;   in Loop: Header=BB4_114 Depth=3
	s_or_b64 exec, exec, s[50:51]
	v_max_f32_e32 v2, v19, v19
	v_max_f32_e32 v16, v17, v17
	;; [unrolled: 1-line block ×3, first 2 shown]
                                        ; implicit-def: $vgpr16
                                        ; implicit-def: $vgpr2
.LBB4_384:                              ;   in Loop: Header=BB4_114 Depth=3
	s_andn2_saveexec_b64 s[48:49], s[48:49]
	s_cbranch_execz .LBB4_398
; %bb.385:                              ;   in Loop: Header=BB4_114 Depth=3
	v_mov_b32_e32 v19, 0
	v_mov_b32_e32 v17, 0
	s_and_saveexec_b64 s[50:51], s[20:21]
	s_cbranch_execz .LBB4_391
; %bb.386:                              ;   in Loop: Header=BB4_114 Depth=3
	v_cmp_ne_u16_sdwa vcc, v16, s63 src0_sel:BYTE_0 src1_sel:DWORD
	v_bfrev_b32_e32 v17, 1
	s_and_saveexec_b64 s[20:21], vcc
	s_cbranch_execz .LBB4_390
; %bb.387:                              ;   in Loop: Header=BB4_114 Depth=3
	v_bfe_u32 v61, v18, 16, 7
	v_cmp_ne_u32_e32 vcc, s64, v61
	v_mov_b32_e32 v17, 0x7f800001
	s_and_saveexec_b64 s[52:53], vcc
	s_cbranch_execz .LBB4_389
; %bb.388:                              ;   in Loop: Header=BB4_114 Depth=3
	v_and_b32_e32 v17, 7, v16
	v_ffbh_u32_e32 v26, v17
	v_min_u32_e32 v37, 32, v26
	v_subrev_u32_e32 v26, 28, v37
	v_lshlrev_b64 v[26:27], v26, v[16:17]
	v_lshrrev_b32_e32 v36, 3, v61
	v_sub_u32_e32 v27, 29, v37
	v_and_b32_e32 v26, 7, v26
	v_cmp_gt_u32_e32 vcc, 8, v61
	v_cndmask_b32_e32 v27, v36, v27, vcc
	v_cndmask_b32_e32 v17, v17, v26, vcc
	v_lshlrev_b32_e32 v16, 24, v16
	v_lshlrev_b32_e32 v17, 20, v17
	v_and_b32_e32 v16, 0x80000000, v16
	v_lshl_add_u32 v26, v27, 23, v46
	v_or3_b32 v17, v16, v26, v17
.LBB4_389:                              ;   in Loop: Header=BB4_114 Depth=3
	s_or_b64 exec, exec, s[52:53]
.LBB4_390:                              ;   in Loop: Header=BB4_114 Depth=3
	s_or_b64 exec, exec, s[20:21]
.LBB4_391:                              ;   in Loop: Header=BB4_114 Depth=3
	s_or_b64 exec, exec, s[50:51]
	v_and_b32_sdwa v16, v22, s62 dst_sel:DWORD dst_unused:UNUSED_PAD src0_sel:WORD_1 src1_sel:DWORD
	v_cmp_ne_u16_e32 vcc, 0, v16
	s_and_saveexec_b64 s[20:21], vcc
	s_cbranch_execz .LBB4_397
; %bb.392:                              ;   in Loop: Header=BB4_114 Depth=3
	v_cmp_ne_u16_e32 vcc, s63, v16
	v_bfrev_b32_e32 v19, 1
	s_and_saveexec_b64 s[50:51], vcc
	s_cbranch_execz .LBB4_396
; %bb.393:                              ;   in Loop: Header=BB4_114 Depth=3
	v_bfe_u32 v16, v22, 16, 7
	v_cmp_ne_u32_e32 vcc, s64, v16
	v_mov_b32_e32 v19, 0x7f800001
	s_and_saveexec_b64 s[52:53], vcc
	s_cbranch_execz .LBB4_395
; %bb.394:                              ;   in Loop: Header=BB4_114 Depth=3
	v_and_b32_e32 v19, 7, v2
	v_ffbh_u32_e32 v26, v19
	v_min_u32_e32 v37, 32, v26
	v_subrev_u32_e32 v26, 28, v37
	v_lshlrev_b64 v[26:27], v26, v[2:3]
	v_lshrrev_b32_e32 v36, 3, v16
	v_sub_u32_e32 v2, 29, v37
	v_and_b32_e32 v26, 7, v26
	v_cmp_gt_u32_e32 vcc, 8, v16
	v_cndmask_b32_e32 v2, v36, v2, vcc
	v_cndmask_b32_e32 v16, v19, v26, vcc
	v_lshlrev_b32_sdwa v19, v6, v22 dst_sel:DWORD dst_unused:UNUSED_PAD src0_sel:DWORD src1_sel:WORD_1
	v_lshlrev_b32_e32 v16, 20, v16
	v_and_b32_e32 v19, 0x80000000, v19
	v_lshl_add_u32 v2, v2, 23, v46
	v_or3_b32 v19, v19, v2, v16
.LBB4_395:                              ;   in Loop: Header=BB4_114 Depth=3
	s_or_b64 exec, exec, s[52:53]
.LBB4_396:                              ;   in Loop: Header=BB4_114 Depth=3
	s_or_b64 exec, exec, s[50:51]
.LBB4_397:                              ;   in Loop: Header=BB4_114 Depth=3
	s_or_b64 exec, exec, s[20:21]
	v_max_f32_e32 v2, v19, v19
	v_max_f32_e32 v16, v17, v17
	v_min_f32_e32 v19, v16, v2
.LBB4_398:                              ;   in Loop: Header=BB4_114 Depth=3
	s_or_b64 exec, exec, s[48:49]
	v_and_b32_sdwa v2, v19, s63 dst_sel:DWORD dst_unused:UNUSED_PAD src0_sel:BYTE_3 src1_sel:DWORD
	v_and_b32_e32 v26, 0x7f800000, v19
	v_mov_b32_e32 v27, v23
	v_and_b32_e32 v16, 0x7fffff, v19
	v_mov_b32_e32 v17, v23
	v_or_b32_e32 v61, 0x7e, v2
	v_cmp_ne_u64_e32 vcc, s[38:39], v[26:27]
	s_and_saveexec_b64 s[20:21], vcc
	s_xor_b64 s[48:49], exec, s[20:21]
	s_cbranch_execz .LBB4_408
; %bb.399:                              ;   in Loop: Header=BB4_114 Depth=3
	v_and_b32_e32 v26, 0x7fffffff, v19
	v_mov_b32_e32 v27, v23
	v_cmp_gt_u64_e32 vcc, s[40:41], v[26:27]
	s_and_saveexec_b64 s[50:51], vcc
	s_cbranch_execz .LBB4_407
; %bb.400:                              ;   in Loop: Header=BB4_114 Depth=3
	v_cmp_ne_u32_e32 vcc, 0, v19
	v_mov_b32_e32 v61, 0
	s_and_saveexec_b64 s[52:53], vcc
	s_cbranch_execz .LBB4_406
; %bb.401:                              ;   in Loop: Header=BB4_114 Depth=3
	v_bfe_u32 v19, v19, 23, 8
	v_sub_u32_e32 v27, 0x79, v19
	v_cmp_gt_u32_e32 vcc, s65, v19
	v_cndmask_b32_e32 v27, 0, v27, vcc
	v_cmp_eq_u32_e32 vcc, 0, v19
	v_add_u32_e32 v26, 0xffffff81, v19
	v_cndmask_b32_e32 v40, v27, v30, vcc
	v_cndmask_b32_e32 v19, v26, v47, vcc
	v_add_u32_e32 v26, 20, v40
	v_or_b32_e32 v36, 0x800000, v16
	v_lshlrev_b64 v[26:27], v26, -1
	v_cndmask_b32_e32 v16, v36, v16, vcc
	v_not_b32_e32 v26, v26
	v_and_b32_e32 v26, v16, v26
	v_lshrrev_b64 v[16:17], v40, v[16:17]
	v_not_b32_e32 v27, v27
	v_add_u32_e32 v36, 19, v40
	v_lshrrev_b32_e32 v41, 23, v16
	v_and_b32_e32 v27, 0, v27
	v_lshlrev_b64 v[36:37], v36, 1
	v_add3_u32 v62, v40, v19, v41
	v_bfe_u32 v19, v16, 20, 1
	v_add_u32_e32 v19, -1, v19
	v_cmp_eq_u64_e32 vcc, v[26:27], v[36:37]
	v_cndmask_b32_e32 v19, 0, v19, vcc
	v_add_u32_e32 v19, v19, v16
	v_and_b32_e32 v19, 0xfffff, v19
	v_add_co_u32_e32 v16, vcc, v19, v16
	v_add_u32_e32 v61, 6, v62
	v_addc_co_u32_e32 v17, vcc, 0, v17, vcc
	v_cmp_ne_u32_e32 vcc, 0, v61
                                        ; implicit-def: $vgpr19
	s_and_saveexec_b64 s[20:21], vcc
	s_xor_b64 s[20:21], exec, s[20:21]
; %bb.402:                              ;   in Loop: Header=BB4_114 Depth=3
	v_cmp_lt_u64_e32 vcc, s[42:43], v[16:17]
	v_add_u32_e32 v19, 7, v62
	v_cndmask_b32_e64 v26, 0, 1, vcc
	v_cndmask_b32_e32 v19, v61, v19, vcc
	v_lshrrev_b64 v[16:17], v26, v[16:17]
; %bb.403:                              ;   in Loop: Header=BB4_114 Depth=3
	s_andn2_saveexec_b64 s[20:21], s[20:21]
; %bb.404:                              ;   in Loop: Header=BB4_114 Depth=3
	v_bfe_u32 v19, v16, 23, 1
; %bb.405:                              ;   in Loop: Header=BB4_114 Depth=3
	s_or_b64 exec, exec, s[20:21]
	v_lshrrev_b64 v[16:17], 20, v[16:17]
	v_cmp_gt_i32_e32 vcc, 16, v19
	v_cndmask_b32_e32 v17, 0, v17, vcc
	v_cndmask_b32_e32 v16, 7, v16, vcc
	v_cmp_eq_u64_e64 s[20:21], 0, v[16:17]
	v_min_i32_e32 v17, 15, v19
	v_lshlrev_b32_e32 v17, 3, v17
	v_cmp_eq_u32_e32 vcc, 0, v19
	v_and_b32_e32 v17, 0xf8, v17
	v_and_or_b32 v16, v16, 7, v17
	s_and_b64 s[20:21], vcc, s[20:21]
	v_cndmask_b32_e64 v16, v16, 0, s[20:21]
	v_or_b32_e32 v61, v16, v2
.LBB4_406:                              ;   in Loop: Header=BB4_114 Depth=3
	s_or_b64 exec, exec, s[52:53]
.LBB4_407:                              ;   in Loop: Header=BB4_114 Depth=3
	s_or_b64 exec, exec, s[50:51]
                                        ; implicit-def: $vgpr19
                                        ; implicit-def: $vgpr16_vgpr17
.LBB4_408:                              ;   in Loop: Header=BB4_114 Depth=3
	s_andn2_saveexec_b64 s[20:21], s[48:49]
; %bb.409:                              ;   in Loop: Header=BB4_114 Depth=3
	v_or_b32_sdwa v2, v19, s64 dst_sel:DWORD dst_unused:UNUSED_PAD src0_sel:BYTE_3 src1_sel:DWORD
	v_cmp_eq_u64_e32 vcc, 0, v[16:17]
	v_cndmask_b32_e32 v61, v2, v61, vcc
; %bb.410:                              ;   in Loop: Header=BB4_114 Depth=3
	s_or_b64 exec, exec, s[20:21]
	v_and_b32_e32 v26, 0xff000000, v18
	v_mov_b32_e32 v27, v23
	v_lshrrev_b32_e32 v16, 24, v18
	v_lshrrev_b32_e32 v2, 24, v22
	v_cmp_ne_u64_e32 vcc, 0, v[26:27]
                                        ; implicit-def: $vgpr17
	s_and_saveexec_b64 s[20:21], s[14:15]
	s_xor_b64 s[48:49], exec, s[20:21]
	s_cbranch_execz .LBB4_424
; %bb.411:                              ;   in Loop: Header=BB4_114 Depth=3
	v_mov_b32_e32 v19, 0
	v_mov_b32_e32 v17, 0
	s_and_saveexec_b64 s[50:51], vcc
	s_cbranch_execz .LBB4_417
; %bb.412:                              ;   in Loop: Header=BB4_114 Depth=3
	v_cmp_ne_u32_e64 s[20:21], s63, v16
	v_bfrev_b32_e32 v17, 1
	s_and_saveexec_b64 s[52:53], s[20:21]
	s_cbranch_execz .LBB4_416
; %bb.413:                              ;   in Loop: Header=BB4_114 Depth=3
	v_bfe_u32 v18, v18, 24, 7
	v_cmp_ne_u32_e64 s[20:21], s64, v18
	v_mov_b32_e32 v17, 0x7f800001
	s_and_saveexec_b64 s[54:55], s[20:21]
	s_cbranch_execz .LBB4_415
; %bb.414:                              ;   in Loop: Header=BB4_114 Depth=3
	v_and_b32_e32 v17, 7, v16
	v_ffbh_u32_e32 v26, v17
	v_min_u32_e32 v37, 32, v26
	v_subrev_u32_e32 v26, 28, v37
	v_lshlrev_b64 v[26:27], v26, v[16:17]
	v_lshrrev_b32_e32 v36, 3, v18
	v_sub_u32_e32 v27, 29, v37
	v_and_b32_e32 v26, 7, v26
	v_cmp_gt_u32_e64 s[20:21], 8, v18
	v_cndmask_b32_e64 v18, v36, v27, s[20:21]
	v_cndmask_b32_e64 v17, v17, v26, s[20:21]
	v_lshlrev_b32_e32 v16, 24, v16
	v_lshlrev_b32_e32 v17, 20, v17
	v_and_b32_e32 v16, 0x80000000, v16
	v_lshl_add_u32 v18, v18, 23, v46
	v_or3_b32 v17, v16, v18, v17
.LBB4_415:                              ;   in Loop: Header=BB4_114 Depth=3
	s_or_b64 exec, exec, s[54:55]
.LBB4_416:                              ;   in Loop: Header=BB4_114 Depth=3
	s_or_b64 exec, exec, s[52:53]
.LBB4_417:                              ;   in Loop: Header=BB4_114 Depth=3
	s_or_b64 exec, exec, s[50:51]
	v_cmp_lt_u32_e64 s[20:21], s66, v22
	s_and_saveexec_b64 s[50:51], s[20:21]
	s_cbranch_execz .LBB4_423
; %bb.418:                              ;   in Loop: Header=BB4_114 Depth=3
	v_cmp_ne_u32_sdwa s[20:21], v22, s63 src0_sel:BYTE_3 src1_sel:DWORD
	v_bfrev_b32_e32 v19, 1
	s_and_saveexec_b64 s[52:53], s[20:21]
	s_cbranch_execz .LBB4_422
; %bb.419:                              ;   in Loop: Header=BB4_114 Depth=3
	v_bfe_u32 v16, v22, 24, 7
	v_cmp_ne_u32_e64 s[20:21], s64, v16
	v_mov_b32_e32 v19, 0x7f800001
	s_and_saveexec_b64 s[54:55], s[20:21]
	s_cbranch_execz .LBB4_421
; %bb.420:                              ;   in Loop: Header=BB4_114 Depth=3
	v_and_b32_e32 v26, 7, v2
	v_ffbh_u32_e32 v18, v26
	v_min_u32_e32 v36, 32, v18
	v_subrev_u32_e32 v18, 28, v36
	v_lshlrev_b64 v[18:19], v18, v[2:3]
	v_lshrrev_b32_e32 v27, 3, v16
	v_sub_u32_e32 v2, 29, v36
	v_and_b32_e32 v18, 7, v18
	v_cmp_gt_u32_e64 s[20:21], 8, v16
	v_cndmask_b32_e64 v2, v27, v2, s[20:21]
	v_cndmask_b32_e64 v16, v26, v18, s[20:21]
	v_lshlrev_b32_sdwa v18, v6, v22 dst_sel:DWORD dst_unused:UNUSED_PAD src0_sel:DWORD src1_sel:BYTE_3
	v_lshlrev_b32_e32 v16, 20, v16
	v_and_b32_e32 v18, 0x80000000, v18
	v_lshl_add_u32 v2, v2, 23, v46
	v_or3_b32 v19, v18, v2, v16
.LBB4_421:                              ;   in Loop: Header=BB4_114 Depth=3
	s_or_b64 exec, exec, s[54:55]
.LBB4_422:                              ;   in Loop: Header=BB4_114 Depth=3
	s_or_b64 exec, exec, s[52:53]
.LBB4_423:                              ;   in Loop: Header=BB4_114 Depth=3
	s_or_b64 exec, exec, s[50:51]
	v_max_f32_e32 v2, v19, v19
	v_max_f32_e32 v16, v17, v17
	;; [unrolled: 1-line block ×3, first 2 shown]
                                        ; implicit-def: $vgpr16
                                        ; implicit-def: $vgpr2
                                        ; implicit-def: $vgpr18_vgpr19
.LBB4_424:                              ;   in Loop: Header=BB4_114 Depth=3
	s_andn2_saveexec_b64 s[20:21], s[48:49]
	s_cbranch_execz .LBB4_438
; %bb.425:                              ;   in Loop: Header=BB4_114 Depth=3
	v_mov_b32_e32 v19, 0
	v_mov_b32_e32 v17, 0
	s_and_saveexec_b64 s[48:49], vcc
	s_cbranch_execz .LBB4_431
; %bb.426:                              ;   in Loop: Header=BB4_114 Depth=3
	v_cmp_ne_u32_e32 vcc, s63, v16
	v_bfrev_b32_e32 v17, 1
	s_and_saveexec_b64 s[50:51], vcc
	s_cbranch_execz .LBB4_430
; %bb.427:                              ;   in Loop: Header=BB4_114 Depth=3
	v_bfe_u32 v18, v18, 24, 7
	v_cmp_ne_u32_e32 vcc, s64, v18
	v_mov_b32_e32 v17, 0x7f800001
	s_and_saveexec_b64 s[52:53], vcc
	s_cbranch_execz .LBB4_429
; %bb.428:                              ;   in Loop: Header=BB4_114 Depth=3
	v_and_b32_e32 v17, 7, v16
	v_ffbh_u32_e32 v26, v17
	v_min_u32_e32 v37, 32, v26
	v_subrev_u32_e32 v26, 28, v37
	v_lshlrev_b64 v[26:27], v26, v[16:17]
	v_lshrrev_b32_e32 v36, 3, v18
	v_sub_u32_e32 v27, 29, v37
	v_and_b32_e32 v26, 7, v26
	v_cmp_gt_u32_e32 vcc, 8, v18
	v_cndmask_b32_e32 v18, v36, v27, vcc
	v_cndmask_b32_e32 v17, v17, v26, vcc
	v_lshlrev_b32_e32 v16, 24, v16
	v_lshlrev_b32_e32 v17, 20, v17
	v_and_b32_e32 v16, 0x80000000, v16
	v_lshl_add_u32 v18, v18, 23, v46
	v_or3_b32 v17, v16, v18, v17
.LBB4_429:                              ;   in Loop: Header=BB4_114 Depth=3
	s_or_b64 exec, exec, s[52:53]
.LBB4_430:                              ;   in Loop: Header=BB4_114 Depth=3
	s_or_b64 exec, exec, s[50:51]
.LBB4_431:                              ;   in Loop: Header=BB4_114 Depth=3
	s_or_b64 exec, exec, s[48:49]
	v_cmp_lt_u32_e32 vcc, s66, v22
	s_and_saveexec_b64 s[48:49], vcc
	s_cbranch_execz .LBB4_437
; %bb.432:                              ;   in Loop: Header=BB4_114 Depth=3
	v_cmp_ne_u32_sdwa vcc, v22, s63 src0_sel:BYTE_3 src1_sel:DWORD
	v_bfrev_b32_e32 v19, 1
	s_and_saveexec_b64 s[50:51], vcc
	s_cbranch_execz .LBB4_436
; %bb.433:                              ;   in Loop: Header=BB4_114 Depth=3
	v_bfe_u32 v16, v22, 24, 7
	v_cmp_ne_u32_e32 vcc, s64, v16
	v_mov_b32_e32 v19, 0x7f800001
	s_and_saveexec_b64 s[52:53], vcc
	s_cbranch_execz .LBB4_435
; %bb.434:                              ;   in Loop: Header=BB4_114 Depth=3
	v_and_b32_e32 v26, 7, v2
	v_ffbh_u32_e32 v18, v26
	v_min_u32_e32 v36, 32, v18
	v_subrev_u32_e32 v18, 28, v36
	v_lshlrev_b64 v[18:19], v18, v[2:3]
	v_lshrrev_b32_e32 v27, 3, v16
	v_sub_u32_e32 v2, 29, v36
	v_and_b32_e32 v18, 7, v18
	v_cmp_gt_u32_e32 vcc, 8, v16
	v_cndmask_b32_e32 v2, v27, v2, vcc
	v_cndmask_b32_e32 v16, v26, v18, vcc
	v_lshlrev_b32_sdwa v18, v6, v22 dst_sel:DWORD dst_unused:UNUSED_PAD src0_sel:DWORD src1_sel:BYTE_3
	v_lshlrev_b32_e32 v16, 20, v16
	v_and_b32_e32 v18, 0x80000000, v18
	v_lshl_add_u32 v2, v2, 23, v46
	v_or3_b32 v19, v18, v2, v16
.LBB4_435:                              ;   in Loop: Header=BB4_114 Depth=3
	s_or_b64 exec, exec, s[52:53]
.LBB4_436:                              ;   in Loop: Header=BB4_114 Depth=3
	s_or_b64 exec, exec, s[50:51]
.LBB4_437:                              ;   in Loop: Header=BB4_114 Depth=3
	s_or_b64 exec, exec, s[48:49]
	v_max_f32_e32 v2, v19, v19
	v_max_f32_e32 v16, v17, v17
	v_min_f32_e32 v17, v16, v2
.LBB4_438:                              ;   in Loop: Header=BB4_114 Depth=3
	s_or_b64 exec, exec, s[20:21]
	v_and_b32_sdwa v2, v17, s63 dst_sel:DWORD dst_unused:UNUSED_PAD src0_sel:BYTE_3 src1_sel:DWORD
	v_and_b32_e32 v18, 0x7f800000, v17
	v_mov_b32_e32 v19, v23
	v_and_b32_e32 v22, 0x7fffff, v17
	v_or_b32_e32 v16, 0x7e, v2
	v_cmp_ne_u64_e32 vcc, s[38:39], v[18:19]
	s_and_saveexec_b64 s[20:21], vcc
	s_xor_b64 s[48:49], exec, s[20:21]
	s_cbranch_execz .LBB4_448
; %bb.439:                              ;   in Loop: Header=BB4_114 Depth=3
	v_and_b32_e32 v18, 0x7fffffff, v17
	v_mov_b32_e32 v19, v23
	v_cmp_gt_u64_e32 vcc, s[40:41], v[18:19]
	s_and_saveexec_b64 s[50:51], vcc
	s_cbranch_execz .LBB4_447
; %bb.440:                              ;   in Loop: Header=BB4_114 Depth=3
	v_cmp_ne_u32_e32 vcc, 0, v17
	v_mov_b32_e32 v16, 0
	s_and_saveexec_b64 s[52:53], vcc
	s_cbranch_execz .LBB4_446
; %bb.441:                              ;   in Loop: Header=BB4_114 Depth=3
	v_bfe_u32 v16, v17, 23, 8
	v_sub_u32_e32 v18, 0x79, v16
	v_cmp_gt_u32_e32 vcc, s65, v16
	v_cndmask_b32_e32 v18, 0, v18, vcc
	v_cmp_eq_u32_e32 vcc, 0, v16
	v_or_b32_e32 v19, 0x800000, v22
	v_cndmask_b32_e32 v18, v18, v30, vcc
	v_add_u32_e32 v17, 0xffffff81, v16
	v_cndmask_b32_e32 v22, v19, v22, vcc
	v_add_u32_e32 v16, 20, v18
	v_cndmask_b32_e32 v40, v17, v47, vcc
	v_lshlrev_b64 v[16:17], v16, -1
	v_add_u32_e32 v19, 19, v18
	v_lshrrev_b64 v[36:37], v18, v[22:23]
	v_not_b32_e32 v17, v17
	v_not_b32_e32 v16, v16
	v_lshlrev_b64 v[26:27], v19, 1
	v_lshrrev_b32_e32 v19, 23, v36
	v_and_b32_e32 v17, 0, v17
	v_and_b32_e32 v16, v22, v16
	v_add3_u32 v40, v18, v40, v19
	v_bfe_u32 v18, v36, 20, 1
	v_add_u32_e32 v18, -1, v18
	v_cmp_eq_u64_e32 vcc, v[16:17], v[26:27]
	v_cndmask_b32_e32 v16, 0, v18, vcc
	v_add_u32_e32 v16, v16, v36
	v_and_b32_e32 v16, 0xfffff, v16
	v_add_co_u32_e32 v16, vcc, v16, v36
	v_add_u32_e32 v19, 6, v40
	v_addc_co_u32_e32 v17, vcc, 0, v37, vcc
	v_cmp_ne_u32_e32 vcc, 0, v19
                                        ; implicit-def: $vgpr18
	s_and_saveexec_b64 s[20:21], vcc
	s_xor_b64 s[20:21], exec, s[20:21]
; %bb.442:                              ;   in Loop: Header=BB4_114 Depth=3
	v_add_u32_e32 v18, 7, v40
	v_cmp_lt_u64_e32 vcc, s[42:43], v[16:17]
	v_cndmask_b32_e32 v18, v19, v18, vcc
	v_cndmask_b32_e64 v19, 0, 1, vcc
	v_lshrrev_b64 v[16:17], v19, v[16:17]
; %bb.443:                              ;   in Loop: Header=BB4_114 Depth=3
	s_andn2_saveexec_b64 s[20:21], s[20:21]
; %bb.444:                              ;   in Loop: Header=BB4_114 Depth=3
	v_bfe_u32 v18, v16, 23, 1
; %bb.445:                              ;   in Loop: Header=BB4_114 Depth=3
	s_or_b64 exec, exec, s[20:21]
	v_lshrrev_b64 v[16:17], 20, v[16:17]
	v_cmp_gt_i32_e32 vcc, 16, v18
	v_cndmask_b32_e32 v17, 0, v17, vcc
	v_cndmask_b32_e32 v16, 7, v16, vcc
	v_cmp_eq_u64_e64 s[20:21], 0, v[16:17]
	v_min_i32_e32 v17, 15, v18
	v_lshlrev_b32_e32 v17, 3, v17
	v_cmp_eq_u32_e32 vcc, 0, v18
	v_and_b32_e32 v17, 0xf8, v17
	v_and_or_b32 v16, v16, 7, v17
	s_and_b64 s[20:21], vcc, s[20:21]
	v_cndmask_b32_e64 v16, v16, 0, s[20:21]
	v_or_b32_e32 v16, v16, v2
.LBB4_446:                              ;   in Loop: Header=BB4_114 Depth=3
	s_or_b64 exec, exec, s[52:53]
.LBB4_447:                              ;   in Loop: Header=BB4_114 Depth=3
	s_or_b64 exec, exec, s[50:51]
                                        ; implicit-def: $vgpr17
.LBB4_448:                              ;   in Loop: Header=BB4_114 Depth=3
	s_andn2_saveexec_b64 s[20:21], s[48:49]
	s_cbranch_execz .LBB4_113
; %bb.449:                              ;   in Loop: Header=BB4_114 Depth=3
	v_or_b32_sdwa v2, v17, s64 dst_sel:DWORD dst_unused:UNUSED_PAD src0_sel:BYTE_3 src1_sel:DWORD
	v_cmp_eq_u64_e32 vcc, 0, v[22:23]
	v_cndmask_b32_e32 v16, v2, v16, vcc
	s_branch .LBB4_113
.LBB4_450:                              ;   in Loop: Header=BB4_70 Depth=2
	s_or_b64 exec, exec, s[46:47]
	v_accvgpr_read_b32 v8, a40
	v_accvgpr_read_b32 v9, a41
	s_or_b64 exec, exec, s[44:45]
	s_and_saveexec_b64 s[20:21], s[10:11]
	s_cbranch_execz .LBB4_74
.LBB4_451:                              ;   in Loop: Header=BB4_70 Depth=2
	s_and_saveexec_b64 vcc, s[30:31]
	s_xor_b64 s[44:45], exec, vcc
	s_cbranch_execz .LBB4_466
; %bb.452:                              ;   in Loop: Header=BB4_70 Depth=2
	s_and_saveexec_b64 s[46:47], s[12:13]
	s_cbranch_execz .LBB4_465
; %bb.453:                              ;   in Loop: Header=BB4_70 Depth=2
	s_mov_b64 s[50:51], exec
	v_mbcnt_lo_u32_b32 v1, s50, 0
	v_mbcnt_hi_u32_b32 v1, s51, v1
	v_cmp_eq_u32_e32 vcc, 0, v1
	s_waitcnt vmcnt(0) lgkmcnt(0)
	buffer_wbinvl1_vol
	s_and_saveexec_b64 s[48:49], vcc
	s_cbranch_execz .LBB4_455
; %bb.454:                              ;   in Loop: Header=BB4_70 Depth=2
	s_bcnt1_i32_b64 vcc_lo, s[50:51]
	v_mov_b32_e32 v22, vcc_lo
	ds_add_u64 v0, v[22:23]
	s_trap 2
.LBB4_455:                              ;   in Loop: Header=BB4_70 Depth=2
	s_or_b64 exec, exec, s[48:49]
	s_trap 2
	ds_read_b64 v[2:3], v0
	v_accvgpr_read_b32 v4, a26
	v_add_co_u32_e32 v42, vcc, v42, v4
	v_accvgpr_read_b32 v1, a27
	v_addc_co_u32_e32 v43, vcc, v43, v1, vcc
	s_waitcnt lgkmcnt(0)
	v_cmp_lt_u64_e32 vcc, v[2:3], v[42:43]
	s_and_saveexec_b64 s[48:49], vcc
	s_cbranch_execz .LBB4_464
; %bb.456:                              ;   in Loop: Header=BB4_70 Depth=2
	s_mov_b32 s72, 0
	s_mov_b64 s[50:51], 0
                                        ; implicit-def: $sgpr52_sgpr53
                                        ; implicit-def: $sgpr54_sgpr55
	s_branch .LBB4_458
.LBB4_457:                              ;   in Loop: Header=BB4_458 Depth=3
	s_or_b64 exec, exec, s[58:59]
	s_and_b64 vcc, exec, vcc
	s_or_b64 s[50:51], vcc, s[50:51]
	s_andn2_b64 vcc, s[52:53], exec
	s_and_b64 s[52:53], s[54:55], exec
	s_or_b64 s[52:53], vcc, s[52:53]
	s_andn2_b64 exec, exec, s[50:51]
	s_cbranch_execz .LBB4_462
.LBB4_458:                              ;   Parent Loop BB4_21 Depth=1
                                        ;     Parent Loop BB4_70 Depth=2
                                        ; =>    This Inner Loop Header: Depth=3
	s_add_i32 s72, s72, 1
	s_cmpk_lg_i32 s72, 0x2710
	s_cselect_b64 s[56:57], -1, 0
	s_and_b64 vcc, exec, s[56:57]
                                        ; implicit-def: $sgpr58_sgpr59
	s_cbranch_vccnz .LBB4_460
; %bb.459:                              ;   in Loop: Header=BB4_458 Depth=3
	s_trap 2
	ds_read_b64 v[2:3], v0
	s_andn2_b64 s[56:57], s[56:57], exec
	s_mov_b32 s72, 0
	s_mov_b64 s[58:59], -1
	s_waitcnt lgkmcnt(0)
	flat_load_dword v1, v[2:3] glc
	s_waitcnt vmcnt(0) lgkmcnt(0)
	buffer_invl2
	buffer_wbinvl1_vol
	v_cmp_eq_u32_e32 vcc, 0, v1
	s_and_b64 vcc, vcc, exec
	s_or_b64 s[56:57], s[56:57], vcc
.LBB4_460:                              ;   in Loop: Header=BB4_458 Depth=3
	s_andn2_b64 s[54:55], s[54:55], exec
	s_and_b64 s[58:59], s[58:59], exec
	s_mov_b64 vcc, -1
	s_or_b64 s[54:55], s[54:55], s[58:59]
	s_and_saveexec_b64 s[58:59], s[56:57]
	s_cbranch_execz .LBB4_457
; %bb.461:                              ;   in Loop: Header=BB4_458 Depth=3
	s_sleep 1
	s_trap 2
	ds_read_b64 v[2:3], v0
	s_andn2_b64 s[54:55], s[54:55], exec
	s_waitcnt lgkmcnt(0)
	v_cmp_ge_u64_e32 vcc, v[2:3], v[42:43]
	s_orn2_b64 vcc, vcc, exec
	s_branch .LBB4_457
.LBB4_462:                              ;   in Loop: Header=BB4_70 Depth=2
	s_or_b64 exec, exec, s[50:51]
	s_and_saveexec_b64 vcc, s[52:53]
	s_xor_b64 vcc, exec, vcc
	s_cbranch_execz .LBB4_464
; %bb.463:                              ;   in Loop: Header=BB4_70 Depth=2
	v_mov_b32_e32 v1, 1
	ds_write_b32 v0, v1
	s_trap 2
.LBB4_464:                              ;   in Loop: Header=BB4_70 Depth=2
	s_or_b64 exec, exec, s[48:49]
	;;#ASMSTART
	s_wakeup
	;;#ASMEND
.LBB4_465:                              ;   in Loop: Header=BB4_70 Depth=2
	s_or_b64 exec, exec, s[46:47]
.LBB4_466:                              ;   in Loop: Header=BB4_70 Depth=2
	s_andn2_saveexec_b64 vcc, s[44:45]
	s_cbranch_execz .LBB4_468
; %bb.467:                              ;   in Loop: Header=BB4_70 Depth=2
	s_waitcnt vmcnt(0) lgkmcnt(0)
	buffer_wbinvl1_vol
	s_barrier
.LBB4_468:                              ;   in Loop: Header=BB4_70 Depth=2
	s_or_b64 exec, exec, vcc
	s_or_b64 exec, exec, s[20:21]
	s_and_saveexec_b64 s[20:21], s[16:17]
	s_cbranch_execnz .LBB4_75
	s_branch .LBB4_76
.LBB4_469:                              ;   in Loop: Header=BB4_21 Depth=1
	v_accvgpr_write_b32 a43, v1
	v_accvgpr_write_b32 a42, v2
	v_pk_mov_b32 v[16:17], v[28:29], v[28:29] op_sel:[0,1]
	s_branch .LBB4_471
.LBB4_470:                              ;   in Loop: Header=BB4_21 Depth=1
	v_accvgpr_read_b32 v55, a9
	v_pk_mov_b32 v[16:17], v[28:29], v[28:29] op_sel:[0,1]
	v_accvgpr_read_b32 v54, a8
.LBB4_471:                              ;   in Loop: Header=BB4_21 Depth=1
	v_accvgpr_read_b32 v4, a42
	v_accvgpr_read_b32 v5, a43
; %bb.472:                              ;   in Loop: Header=BB4_21 Depth=1
	s_and_saveexec_b64 s[20:21], s[18:19]
	s_cbranch_execz .LBB4_830
; %bb.473:                              ;   in Loop: Header=BB4_21 Depth=1
	v_accvgpr_read_b32 v0, a4
	v_accvgpr_read_b32 v1, a5
	flat_load_dword v8, v[0:1]
	s_waitcnt vmcnt(0) lgkmcnt(0)
	v_accvgpr_read_b32 v2, a10
	v_accvgpr_read_b32 v3, a11
	v_add_co_u32_e32 v2, vcc, v2, v4
	v_addc_co_u32_e32 v3, vcc, v3, v5, vcc
	v_accvgpr_read_b32 v0, a32
	v_add_co_u32_e32 v0, vcc, v0, v4
	v_and_b32_e32 v4, 7, v34
	v_accvgpr_read_b32 v1, a33
	v_mul_lo_u32 v4, v4, s60
	v_addc_co_u32_e32 v1, vcc, v1, v5, vcc
	v_ashrrev_i32_e32 v5, 31, v4
	v_lshlrev_b64 v[4:5], 4, v[4:5]
	v_accvgpr_read_b32 v10, a16
	v_accvgpr_read_b32 v11, a17
	v_add_co_u32_e32 v28, vcc, v10, v4
	v_addc_co_u32_e32 v29, vcc, v11, v5, vcc
	v_accvgpr_read_b32 v5, a23
	v_accvgpr_read_b32 v9, a22
	v_add_u32_e32 v25, 1, v34
	s_mov_b64 s[44:45], 0
	v_mov_b32_e32 v26, v44
	v_ashrrev_i32_e32 v4, 31, v8
	v_mul_lo_u32 v5, v5, v8
	v_mad_u64_u32 v[2:3], s[18:19], v9, v8, v[2:3]
	v_mul_lo_u32 v4, v9, v4
	v_add3_u32 v3, v5, v3, v4
	v_accvgpr_read_b32 v4, a28
	v_add_co_u32_e32 v18, vcc, v2, v4
	v_accvgpr_read_b32 v5, a29
	v_addc_co_u32_e32 v19, vcc, v3, v5, vcc
	s_branch .LBB4_475
.LBB4_474:                              ;   in Loop: Header=BB4_475 Depth=2
	v_add_co_u32_e32 v18, vcc, v18, v56
	v_addc_co_u32_e32 v19, vcc, v19, v45, vcc
	v_add_co_u32_e32 v0, vcc, v0, v56
	v_addc_co_u32_e32 v1, vcc, v1, v45, vcc
	v_sub_u32_e32 v21, v21, v56
	v_cmp_gt_i32_e32 vcc, 1, v21
	s_or_b64 s[44:45], vcc, s[44:45]
	v_add_u32_e32 v26, v26, v20
	s_andn2_b64 exec, exec, s[44:45]
	s_cbranch_execz .LBB4_829
.LBB4_475:                              ;   Parent Loop BB4_21 Depth=1
                                        ; =>  This Loop Header: Depth=2
                                        ;       Child Loop BB4_483 Depth 3
	v_and_b32_e32 v2, -4, v18
	v_mov_b32_e32 v3, v19
	global_load_dword v8, v[2:3], off glc slc
	v_min_u32_e32 v4, 8, v21
	v_and_b32_e32 v5, 3, v18
	v_add_co_u32_e32 v4, vcc, v5, v4
	v_addc_co_u32_e64 v5, s[18:19], 0, 0, vcc
	v_mov_b32_e32 v31, 0
	v_cmp_lt_u64_e32 vcc, 4, v[4:5]
	v_mov_b32_e32 v32, 0
	s_and_saveexec_b64 s[18:19], vcc
	s_cbranch_execz .LBB4_477
; %bb.476:                              ;   in Loop: Header=BB4_475 Depth=2
	global_load_dword v32, v[2:3], off offset:4 glc slc
.LBB4_477:                              ;   in Loop: Header=BB4_475 Depth=2
	s_or_b64 exec, exec, s[18:19]
	v_cmp_lt_u64_e32 vcc, 8, v[4:5]
	s_and_saveexec_b64 s[18:19], vcc
	s_cbranch_execz .LBB4_479
; %bb.478:                              ;   in Loop: Header=BB4_475 Depth=2
	global_load_dword v31, v[2:3], off offset:8 glc slc
.LBB4_479:                              ;   in Loop: Header=BB4_475 Depth=2
	s_or_b64 exec, exec, s[18:19]
	v_ashrrev_i32_e32 v27, 31, v26
	v_lshlrev_b64 v[2:3], 4, v[26:27]
	v_add_co_u32_e32 v10, vcc, v28, v2
	v_addc_co_u32_e32 v11, vcc, v29, v3, vcc
	global_load_dwordx4 v[2:5], v[10:11], off glc slc
	v_cmp_eq_u32_e32 vcc, 0, v7
	s_and_saveexec_b64 s[46:47], vcc
	s_cbranch_execz .LBB4_491
; %bb.480:                              ;   in Loop: Header=BB4_475 Depth=2
	s_waitcnt vmcnt(0)
	v_cmp_ne_u32_e32 vcc, v25, v3
	v_cmp_ne_u32_e64 s[18:19], v25, v5
	s_or_b64 s[18:19], vcc, s[18:19]
	v_mov_b32_e32 v7, 0
	s_and_saveexec_b64 s[48:49], s[18:19]
	s_cbranch_execz .LBB4_490
; %bb.481:                              ;   in Loop: Header=BB4_475 Depth=2
	s_mov_b32 s54, 1
	s_mov_b64 s[50:51], 0
	v_mov_b32_e32 v7, 0
	s_branch .LBB4_483
.LBB4_482:                              ;   in Loop: Header=BB4_483 Depth=3
	s_or_b64 exec, exec, s[52:53]
	s_and_b64 s[18:19], exec, s[18:19]
	s_or_b64 s[50:51], s[18:19], s[50:51]
	s_andn2_b64 exec, exec, s[50:51]
	s_cbranch_execz .LBB4_489
.LBB4_483:                              ;   Parent Loop BB4_21 Depth=1
                                        ;     Parent Loop BB4_475 Depth=2
                                        ; =>    This Inner Loop Header: Depth=3
	global_load_dwordx4 v[2:5], v[10:11], off glc slc
	s_add_i32 s54, s54, 1
	s_cmpk_lg_i32 s54, 0x2710
	s_cbranch_scc1 .LBB4_487
; %bb.484:                              ;   in Loop: Header=BB4_483 Depth=3
	s_trap 2
	ds_read_b64 v[48:49], v0
	s_waitcnt vmcnt(0) lgkmcnt(0)
	flat_load_dword v9, v[48:49] glc
	s_waitcnt vmcnt(0) lgkmcnt(0)
	buffer_invl2
	buffer_wbinvl1_vol
	v_cmp_ne_u32_e32 vcc, 0, v9
	s_and_saveexec_b64 s[18:19], vcc
	s_cbranch_execz .LBB4_486
; %bb.485:                              ;   in Loop: Header=BB4_483 Depth=3
	v_mov_b32_e32 v7, 1
	ds_write_b32 v0, v9
	s_trap 2
.LBB4_486:                              ;   in Loop: Header=BB4_483 Depth=3
	s_or_b64 exec, exec, s[18:19]
	s_mov_b32 s54, 0
	v_mov_b32_e32 v9, v7
	v_cmp_eq_u32_e32 vcc, 0, v9
	s_mov_b64 s[18:19], -1
	s_and_saveexec_b64 s[52:53], vcc
	s_cbranch_execz .LBB4_482
	s_branch .LBB4_488
.LBB4_487:                              ;   in Loop: Header=BB4_483 Depth=3
	v_mov_b32_e32 v9, 0
	v_cmp_eq_u32_e32 vcc, 0, v9
	s_mov_b64 s[18:19], -1
	s_and_saveexec_b64 s[52:53], vcc
	s_cbranch_execz .LBB4_482
.LBB4_488:                              ;   in Loop: Header=BB4_483 Depth=3
	s_waitcnt vmcnt(0)
	v_cmp_eq_u32_e32 vcc, v25, v3
	v_cmp_eq_u32_e64 s[18:19], v25, v5
	s_and_b64 s[18:19], vcc, s[18:19]
	s_orn2_b64 s[18:19], s[18:19], exec
	s_branch .LBB4_482
.LBB4_489:                              ;   in Loop: Header=BB4_475 Depth=2
	s_or_b64 exec, exec, s[50:51]
.LBB4_490:                              ;   in Loop: Header=BB4_475 Depth=2
	s_or_b64 exec, exec, s[48:49]
.LBB4_491:                              ;   in Loop: Header=BB4_475 Depth=2
	s_or_b64 exec, exec, s[46:47]
	s_waitcnt vmcnt(0)
	v_lshlrev_b32_e32 v5, 3, v18
	v_alignbit_b32 v22, v32, v8, v5
	v_cmp_ne_u16_sdwa s[18:19], v2, v23 src0_sel:BYTE_0 src1_sel:DWORD
                                        ; implicit-def: $vgpr9
	s_and_saveexec_b64 vcc, s[14:15]
	s_xor_b64 s[46:47], exec, vcc
	s_cbranch_execz .LBB4_505
; %bb.492:                              ;   in Loop: Header=BB4_475 Depth=2
	v_mov_b32_e32 v9, 0
	v_mov_b32_e32 v8, 0
	s_and_saveexec_b64 s[48:49], s[18:19]
	s_cbranch_execz .LBB4_498
; %bb.493:                              ;   in Loop: Header=BB4_475 Depth=2
	v_cmp_ne_u16_sdwa vcc, v2, s63 src0_sel:BYTE_0 src1_sel:DWORD
	v_bfrev_b32_e32 v8, 1
	s_and_saveexec_b64 s[50:51], vcc
	s_cbranch_execz .LBB4_497
; %bb.494:                              ;   in Loop: Header=BB4_475 Depth=2
	v_and_b32_e32 v10, 0x7f, v2
	v_cmp_ne_u32_e32 vcc, s64, v10
	v_mov_b32_e32 v8, 0x7f800001
	s_and_saveexec_b64 s[52:53], vcc
	s_cbranch_execz .LBB4_496
; %bb.495:                              ;   in Loop: Header=BB4_475 Depth=2
	v_and_b32_e32 v8, 7, v2
	v_ffbh_u32_e32 v8, v8
	v_min_u32_e32 v8, 32, v8
	v_subrev_u32_e32 v24, 28, v8
	v_cmp_gt_u32_e32 vcc, 8, v10
	v_lshrrev_b32_e32 v11, 3, v10
	v_sub_u32_e32 v8, 29, v8
	v_cndmask_b32_e32 v10, 0, v24, vcc
	v_cndmask_b32_e32 v8, v11, v8, vcc
	v_lshlrev_b64 v[10:11], v10, v[2:3]
	v_lshlrev_b32_e32 v10, 20, v10
	v_lshlrev_b32_e32 v11, 24, v2
	v_and_b32_e32 v10, 0x700000, v10
	v_and_b32_e32 v11, 0x80000000, v11
	v_lshl_add_u32 v8, v8, 23, v46
	v_or3_b32 v8, v11, v8, v10
.LBB4_496:                              ;   in Loop: Header=BB4_475 Depth=2
	s_or_b64 exec, exec, s[52:53]
.LBB4_497:                              ;   in Loop: Header=BB4_475 Depth=2
	s_or_b64 exec, exec, s[50:51]
.LBB4_498:                              ;   in Loop: Header=BB4_475 Depth=2
	s_or_b64 exec, exec, s[48:49]
	v_cmp_ne_u16_sdwa vcc, v22, v23 src0_sel:BYTE_0 src1_sel:DWORD
	s_and_saveexec_b64 s[48:49], vcc
	s_cbranch_execz .LBB4_504
; %bb.499:                              ;   in Loop: Header=BB4_475 Depth=2
	v_cmp_ne_u16_sdwa vcc, v22, s63 src0_sel:BYTE_0 src1_sel:DWORD
	v_bfrev_b32_e32 v9, 1
	s_and_saveexec_b64 s[50:51], vcc
	s_cbranch_execz .LBB4_503
; %bb.500:                              ;   in Loop: Header=BB4_475 Depth=2
	v_and_b32_e32 v10, 0x7f, v22
	v_cmp_ne_u32_e32 vcc, s64, v10
	v_mov_b32_e32 v9, 0x7f800001
	s_and_saveexec_b64 s[52:53], vcc
	s_cbranch_execz .LBB4_502
; %bb.501:                              ;   in Loop: Header=BB4_475 Depth=2
	v_and_b32_e32 v9, 7, v22
	v_ffbh_u32_e32 v9, v9
	v_min_u32_e32 v9, 32, v9
	v_subrev_u32_e32 v24, 28, v9
	v_cmp_gt_u32_e32 vcc, 8, v10
	v_lshrrev_b32_e32 v11, 3, v10
	v_sub_u32_e32 v9, 29, v9
	v_cndmask_b32_e32 v10, 0, v24, vcc
	v_cndmask_b32_e32 v9, v11, v9, vcc
	v_lshlrev_b64 v[10:11], v10, v[22:23]
	v_lshlrev_b32_e32 v10, 20, v10
	v_lshlrev_b32_e32 v11, 24, v22
	v_and_b32_e32 v10, 0x700000, v10
	v_and_b32_e32 v11, 0x80000000, v11
	v_lshl_add_u32 v9, v9, 23, v46
	v_or3_b32 v9, v11, v9, v10
.LBB4_502:                              ;   in Loop: Header=BB4_475 Depth=2
	s_or_b64 exec, exec, s[52:53]
.LBB4_503:                              ;   in Loop: Header=BB4_475 Depth=2
	s_or_b64 exec, exec, s[50:51]
.LBB4_504:                              ;   in Loop: Header=BB4_475 Depth=2
	s_or_b64 exec, exec, s[48:49]
	v_max_f32_e32 v9, v9, v9
	v_max_f32_e32 v8, v8, v8
	;; [unrolled: 1-line block ×3, first 2 shown]
.LBB4_505:                              ;   in Loop: Header=BB4_475 Depth=2
	s_andn2_saveexec_b64 s[46:47], s[46:47]
	s_cbranch_execz .LBB4_519
; %bb.506:                              ;   in Loop: Header=BB4_475 Depth=2
	v_mov_b32_e32 v9, 0
	v_mov_b32_e32 v8, 0
	s_and_saveexec_b64 s[48:49], s[18:19]
	s_cbranch_execz .LBB4_512
; %bb.507:                              ;   in Loop: Header=BB4_475 Depth=2
	v_cmp_ne_u16_sdwa vcc, v2, s63 src0_sel:BYTE_0 src1_sel:DWORD
	v_bfrev_b32_e32 v8, 1
	s_and_saveexec_b64 s[18:19], vcc
	s_cbranch_execz .LBB4_511
; %bb.508:                              ;   in Loop: Header=BB4_475 Depth=2
	v_and_b32_e32 v10, 0x7f, v2
	v_cmp_ne_u32_e32 vcc, s64, v10
	v_mov_b32_e32 v8, 0x7f800001
	s_and_saveexec_b64 s[50:51], vcc
	s_cbranch_execz .LBB4_510
; %bb.509:                              ;   in Loop: Header=BB4_475 Depth=2
	v_and_b32_e32 v8, 7, v2
	v_ffbh_u32_e32 v8, v8
	v_min_u32_e32 v8, 32, v8
	v_subrev_u32_e32 v24, 28, v8
	v_cmp_gt_u32_e32 vcc, 8, v10
	v_lshrrev_b32_e32 v11, 3, v10
	v_sub_u32_e32 v8, 29, v8
	v_cndmask_b32_e32 v10, 0, v24, vcc
	v_cndmask_b32_e32 v8, v11, v8, vcc
	v_lshlrev_b64 v[10:11], v10, v[2:3]
	v_lshlrev_b32_e32 v3, 20, v10
	v_lshlrev_b32_e32 v10, 24, v2
	v_and_b32_e32 v3, 0x700000, v3
	v_and_b32_e32 v10, 0x80000000, v10
	v_lshl_add_u32 v8, v8, 23, v46
	v_or3_b32 v8, v10, v8, v3
.LBB4_510:                              ;   in Loop: Header=BB4_475 Depth=2
	s_or_b64 exec, exec, s[50:51]
.LBB4_511:                              ;   in Loop: Header=BB4_475 Depth=2
	s_or_b64 exec, exec, s[18:19]
.LBB4_512:                              ;   in Loop: Header=BB4_475 Depth=2
	s_or_b64 exec, exec, s[48:49]
	v_cmp_ne_u16_sdwa vcc, v22, v23 src0_sel:BYTE_0 src1_sel:DWORD
	s_and_saveexec_b64 s[18:19], vcc
	s_cbranch_execz .LBB4_518
; %bb.513:                              ;   in Loop: Header=BB4_475 Depth=2
	v_cmp_ne_u16_sdwa vcc, v22, s63 src0_sel:BYTE_0 src1_sel:DWORD
	v_bfrev_b32_e32 v9, 1
	s_and_saveexec_b64 s[48:49], vcc
	s_cbranch_execz .LBB4_517
; %bb.514:                              ;   in Loop: Header=BB4_475 Depth=2
	v_and_b32_e32 v3, 0x7f, v22
	v_cmp_ne_u32_e32 vcc, s64, v3
	v_mov_b32_e32 v9, 0x7f800001
	s_and_saveexec_b64 s[50:51], vcc
	s_cbranch_execz .LBB4_516
; %bb.515:                              ;   in Loop: Header=BB4_475 Depth=2
	v_and_b32_e32 v9, 7, v22
	v_ffbh_u32_e32 v9, v9
	v_min_u32_e32 v9, 32, v9
	v_lshrrev_b32_e32 v10, 3, v3
	v_subrev_u32_e32 v11, 28, v9
	v_sub_u32_e32 v9, 29, v9
	v_cmp_gt_u32_e32 vcc, 8, v3
	v_cndmask_b32_e32 v3, v10, v9, vcc
	v_cndmask_b32_e32 v9, 0, v11, vcc
	v_lshlrev_b64 v[10:11], v9, v[22:23]
	v_lshlrev_b32_e32 v9, 20, v10
	v_lshlrev_b32_e32 v10, 24, v22
	v_and_b32_e32 v9, 0x700000, v9
	v_and_b32_e32 v10, 0x80000000, v10
	v_lshl_add_u32 v3, v3, 23, v46
	v_or3_b32 v9, v10, v3, v9
.LBB4_516:                              ;   in Loop: Header=BB4_475 Depth=2
	s_or_b64 exec, exec, s[50:51]
.LBB4_517:                              ;   in Loop: Header=BB4_475 Depth=2
	s_or_b64 exec, exec, s[48:49]
.LBB4_518:                              ;   in Loop: Header=BB4_475 Depth=2
	s_or_b64 exec, exec, s[18:19]
	v_max_f32_e32 v3, v9, v9
	v_max_f32_e32 v8, v8, v8
	v_min_f32_e32 v9, v8, v3
.LBB4_519:                              ;   in Loop: Header=BB4_475 Depth=2
	s_or_b64 exec, exec, s[46:47]
	v_and_b32_sdwa v3, v9, s63 dst_sel:DWORD dst_unused:UNUSED_PAD src0_sel:BYTE_3 src1_sel:DWORD
	v_and_b32_e32 v48, 0x7f800000, v9
	v_mov_b32_e32 v49, v23
	v_and_b32_e32 v10, 0x7fffff, v9
	v_mov_b32_e32 v11, v23
	v_or_b32_e32 v8, 0x7e, v3
	v_cmp_ne_u64_e32 vcc, s[38:39], v[48:49]
	s_and_saveexec_b64 s[18:19], vcc
	s_xor_b64 s[46:47], exec, s[18:19]
	s_cbranch_execz .LBB4_529
; %bb.520:                              ;   in Loop: Header=BB4_475 Depth=2
	v_and_b32_e32 v48, 0x7fffffff, v9
	v_mov_b32_e32 v49, v23
	v_cmp_gt_u64_e32 vcc, s[40:41], v[48:49]
	s_and_saveexec_b64 s[48:49], vcc
	s_cbranch_execz .LBB4_528
; %bb.521:                              ;   in Loop: Header=BB4_475 Depth=2
	v_cmp_ne_u32_e32 vcc, 0, v9
	v_mov_b32_e32 v8, 0
	s_and_saveexec_b64 s[50:51], vcc
	s_cbranch_execz .LBB4_527
; %bb.522:                              ;   in Loop: Header=BB4_475 Depth=2
	v_bfe_u32 v8, v9, 23, 8
	v_sub_u32_e32 v24, 0x79, v8
	v_cmp_gt_u32_e32 vcc, s65, v8
	v_cndmask_b32_e32 v24, 0, v24, vcc
	v_cmp_eq_u32_e32 vcc, 0, v8
	v_cndmask_b32_e32 v24, v24, v30, vcc
	v_add_u32_e32 v9, 0xffffff81, v8
	v_add_u32_e32 v8, 20, v24
	v_or_b32_e32 v27, 0x800000, v10
	v_cndmask_b32_e32 v33, v9, v47, vcc
	v_lshlrev_b64 v[8:9], v8, -1
	v_cndmask_b32_e32 v10, v27, v10, vcc
	v_not_b32_e32 v8, v8
	v_and_b32_e32 v48, v10, v8
	v_add_u32_e32 v8, 19, v24
	v_lshrrev_b64 v[10:11], v24, v[10:11]
	v_not_b32_e32 v9, v9
	v_lshlrev_b64 v[54:55], v8, 1
	v_lshrrev_b32_e32 v8, 23, v10
	v_and_b32_e32 v49, 0, v9
	v_add3_u32 v24, v24, v33, v8
	v_bfe_u32 v8, v10, 20, 1
	v_add_u32_e32 v8, -1, v8
	v_cmp_eq_u64_e32 vcc, v[48:49], v[54:55]
	v_cndmask_b32_e32 v8, 0, v8, vcc
	v_add_u32_e32 v8, v8, v10
	v_and_b32_e32 v8, 0xfffff, v8
	v_add_co_u32_e32 v10, vcc, v8, v10
	v_add_u32_e32 v9, 6, v24
	v_addc_co_u32_e32 v11, vcc, 0, v11, vcc
	v_cmp_ne_u32_e32 vcc, 0, v9
                                        ; implicit-def: $vgpr8
	s_and_saveexec_b64 s[18:19], vcc
	s_xor_b64 s[18:19], exec, s[18:19]
; %bb.523:                              ;   in Loop: Header=BB4_475 Depth=2
	v_add_u32_e32 v8, 7, v24
	v_cmp_lt_u64_e32 vcc, s[42:43], v[10:11]
	v_cndmask_b32_e32 v8, v9, v8, vcc
	v_cndmask_b32_e64 v9, 0, 1, vcc
	v_lshrrev_b64 v[10:11], v9, v[10:11]
; %bb.524:                              ;   in Loop: Header=BB4_475 Depth=2
	s_andn2_saveexec_b64 s[18:19], s[18:19]
; %bb.525:                              ;   in Loop: Header=BB4_475 Depth=2
	v_bfe_u32 v8, v10, 23, 1
; %bb.526:                              ;   in Loop: Header=BB4_475 Depth=2
	s_or_b64 exec, exec, s[18:19]
	v_lshrrev_b64 v[10:11], 20, v[10:11]
	v_cmp_gt_i32_e32 vcc, 16, v8
	v_cndmask_b32_e32 v11, 0, v11, vcc
	v_cndmask_b32_e32 v10, 7, v10, vcc
	v_cmp_eq_u32_e32 vcc, 0, v8
	v_min_i32_e32 v8, 15, v8
	v_cmp_eq_u64_e64 s[18:19], 0, v[10:11]
	v_lshlrev_b32_e32 v8, 3, v8
	v_and_or_b32 v8, v10, 7, v8
	s_and_b64 s[18:19], vcc, s[18:19]
	v_cndmask_b32_e64 v8, v8, 0, s[18:19]
	v_accvgpr_read_b32 v55, a9
	v_or_b32_e32 v8, v8, v3
	v_accvgpr_read_b32 v54, a8
.LBB4_527:                              ;   in Loop: Header=BB4_475 Depth=2
	s_or_b64 exec, exec, s[50:51]
.LBB4_528:                              ;   in Loop: Header=BB4_475 Depth=2
	s_or_b64 exec, exec, s[48:49]
                                        ; implicit-def: $vgpr9
                                        ; implicit-def: $vgpr10_vgpr11
.LBB4_529:                              ;   in Loop: Header=BB4_475 Depth=2
	s_andn2_saveexec_b64 s[18:19], s[46:47]
; %bb.530:                              ;   in Loop: Header=BB4_475 Depth=2
	v_or_b32_sdwa v3, v9, s64 dst_sel:DWORD dst_unused:UNUSED_PAD src0_sel:BYTE_3 src1_sel:DWORD
	v_cmp_eq_u64_e32 vcc, 0, v[10:11]
	v_cndmask_b32_e32 v8, v3, v8, vcc
; %bb.531:                              ;   in Loop: Header=BB4_475 Depth=2
	s_or_b64 exec, exec, s[18:19]
	v_lshrrev_b16_e32 v24, 8, v2
	v_lshrrev_b16_e32 v10, 8, v22
	v_cmp_ne_u16_e32 vcc, 0, v24
                                        ; implicit-def: $vgpr27
	s_and_saveexec_b64 s[18:19], s[14:15]
	s_xor_b64 s[46:47], exec, s[18:19]
	s_cbranch_execz .LBB4_545
; %bb.532:                              ;   in Loop: Header=BB4_475 Depth=2
	v_mov_b32_e32 v9, 0
	v_mov_b32_e32 v3, 0
	s_and_saveexec_b64 s[48:49], vcc
	s_cbranch_execz .LBB4_538
; %bb.533:                              ;   in Loop: Header=BB4_475 Depth=2
	v_cmp_ne_u16_e64 s[18:19], s63, v24
	v_bfrev_b32_e32 v3, 1
	s_and_saveexec_b64 s[50:51], s[18:19]
	s_cbranch_execz .LBB4_537
; %bb.534:                              ;   in Loop: Header=BB4_475 Depth=2
	v_and_b32_e32 v11, 0x7f, v24
	v_cmp_ne_u32_e64 s[18:19], s64, v11
	v_mov_b32_e32 v3, 0x7f800001
	s_and_saveexec_b64 s[52:53], s[18:19]
	s_cbranch_execz .LBB4_536
; %bb.535:                              ;   in Loop: Header=BB4_475 Depth=2
	v_and_b32_e32 v3, 7, v24
	v_ffbh_u32_e32 v33, v3
	v_min_u32_e32 v33, 32, v33
	v_subrev_u32_e32 v36, 28, v33
	v_lshlrev_b64 v[48:49], v36, v[24:25]
	v_lshrrev_b32_e32 v27, 3, v11
	v_sub_u32_e32 v24, 29, v33
	v_and_b32_e32 v33, 7, v48
	v_cmp_gt_u32_e64 s[18:19], 8, v11
	v_cndmask_b32_e64 v11, v27, v24, s[18:19]
	v_cndmask_b32_e64 v3, v3, v33, s[18:19]
	v_lshlrev_b32_e32 v24, 16, v2
	v_lshlrev_b32_e32 v3, 20, v3
	v_and_b32_e32 v24, 0x80000000, v24
	v_lshl_add_u32 v11, v11, 23, v46
	v_or3_b32 v3, v24, v11, v3
.LBB4_536:                              ;   in Loop: Header=BB4_475 Depth=2
	s_or_b64 exec, exec, s[52:53]
.LBB4_537:                              ;   in Loop: Header=BB4_475 Depth=2
	s_or_b64 exec, exec, s[50:51]
.LBB4_538:                              ;   in Loop: Header=BB4_475 Depth=2
	s_or_b64 exec, exec, s[48:49]
	v_cmp_ne_u16_e64 s[18:19], 0, v10
	s_and_saveexec_b64 s[48:49], s[18:19]
	s_cbranch_execz .LBB4_544
; %bb.539:                              ;   in Loop: Header=BB4_475 Depth=2
	v_cmp_ne_u16_e64 s[18:19], s63, v10
	v_bfrev_b32_e32 v9, 1
	s_and_saveexec_b64 s[50:51], s[18:19]
	s_cbranch_execz .LBB4_543
; %bb.540:                              ;   in Loop: Header=BB4_475 Depth=2
	v_and_b32_e32 v11, 0x7f, v10
	v_cmp_ne_u32_e64 s[18:19], s64, v11
	v_mov_b32_e32 v9, 0x7f800001
	s_and_saveexec_b64 s[52:53], s[18:19]
	s_cbranch_execz .LBB4_542
; %bb.541:                              ;   in Loop: Header=BB4_475 Depth=2
	v_and_b32_e32 v9, 7, v10
	v_ffbh_u32_e32 v27, v9
	v_min_u32_e32 v27, 32, v27
	v_subrev_u32_e32 v33, 28, v27
	v_lshlrev_b64 v[48:49], v33, v[10:11]
	v_lshrrev_b32_e32 v24, 3, v11
	v_sub_u32_e32 v10, 29, v27
	v_and_b32_e32 v27, 7, v48
	v_cmp_gt_u32_e64 s[18:19], 8, v11
	v_cndmask_b32_e64 v10, v24, v10, s[18:19]
	v_cndmask_b32_e64 v9, v9, v27, s[18:19]
	v_lshlrev_b32_e32 v11, 16, v22
	v_lshlrev_b32_e32 v9, 20, v9
	v_and_b32_e32 v11, 0x80000000, v11
	v_lshl_add_u32 v10, v10, 23, v46
	v_or3_b32 v9, v11, v10, v9
.LBB4_542:                              ;   in Loop: Header=BB4_475 Depth=2
	s_or_b64 exec, exec, s[52:53]
.LBB4_543:                              ;   in Loop: Header=BB4_475 Depth=2
	s_or_b64 exec, exec, s[50:51]
.LBB4_544:                              ;   in Loop: Header=BB4_475 Depth=2
	s_or_b64 exec, exec, s[48:49]
	v_max_f32_e32 v9, v9, v9
	v_max_f32_e32 v3, v3, v3
	v_max_f32_e32 v27, v3, v9
                                        ; implicit-def: $vgpr10
                                        ; implicit-def: $vgpr24
.LBB4_545:                              ;   in Loop: Header=BB4_475 Depth=2
	s_andn2_saveexec_b64 s[18:19], s[46:47]
	s_cbranch_execz .LBB4_559
; %bb.546:                              ;   in Loop: Header=BB4_475 Depth=2
	v_mov_b32_e32 v9, 0
	v_mov_b32_e32 v3, 0
	s_and_saveexec_b64 s[46:47], vcc
	s_cbranch_execz .LBB4_552
; %bb.547:                              ;   in Loop: Header=BB4_475 Depth=2
	v_cmp_ne_u16_e32 vcc, s63, v24
	v_bfrev_b32_e32 v3, 1
	s_and_saveexec_b64 s[48:49], vcc
	s_cbranch_execz .LBB4_551
; %bb.548:                              ;   in Loop: Header=BB4_475 Depth=2
	v_and_b32_e32 v11, 0x7f, v24
	v_cmp_ne_u32_e32 vcc, s64, v11
	v_mov_b32_e32 v3, 0x7f800001
	s_and_saveexec_b64 s[50:51], vcc
	s_cbranch_execz .LBB4_550
; %bb.549:                              ;   in Loop: Header=BB4_475 Depth=2
	v_and_b32_e32 v3, 7, v24
	v_ffbh_u32_e32 v33, v3
	v_min_u32_e32 v33, 32, v33
	v_subrev_u32_e32 v36, 28, v33
	v_lshlrev_b64 v[48:49], v36, v[24:25]
	v_lshrrev_b32_e32 v27, 3, v11
	v_sub_u32_e32 v24, 29, v33
	v_and_b32_e32 v33, 7, v48
	v_cmp_gt_u32_e32 vcc, 8, v11
	v_cndmask_b32_e32 v11, v27, v24, vcc
	v_cndmask_b32_e32 v3, v3, v33, vcc
	v_lshlrev_b32_e32 v24, 16, v2
	v_lshlrev_b32_e32 v3, 20, v3
	v_and_b32_e32 v24, 0x80000000, v24
	v_lshl_add_u32 v11, v11, 23, v46
	v_or3_b32 v3, v24, v11, v3
.LBB4_550:                              ;   in Loop: Header=BB4_475 Depth=2
	s_or_b64 exec, exec, s[50:51]
.LBB4_551:                              ;   in Loop: Header=BB4_475 Depth=2
	s_or_b64 exec, exec, s[48:49]
.LBB4_552:                              ;   in Loop: Header=BB4_475 Depth=2
	s_or_b64 exec, exec, s[46:47]
	v_cmp_ne_u16_e32 vcc, 0, v10
	s_and_saveexec_b64 s[46:47], vcc
	s_cbranch_execz .LBB4_558
; %bb.553:                              ;   in Loop: Header=BB4_475 Depth=2
	v_cmp_ne_u16_e32 vcc, s63, v10
	v_bfrev_b32_e32 v9, 1
	s_and_saveexec_b64 s[48:49], vcc
	s_cbranch_execz .LBB4_557
; %bb.554:                              ;   in Loop: Header=BB4_475 Depth=2
	v_and_b32_e32 v11, 0x7f, v10
	v_cmp_ne_u32_e32 vcc, s64, v11
	v_mov_b32_e32 v9, 0x7f800001
	s_and_saveexec_b64 s[50:51], vcc
	s_cbranch_execz .LBB4_556
; %bb.555:                              ;   in Loop: Header=BB4_475 Depth=2
	v_and_b32_e32 v9, 7, v10
	v_ffbh_u32_e32 v27, v9
	v_min_u32_e32 v27, 32, v27
	v_subrev_u32_e32 v33, 28, v27
	v_lshlrev_b64 v[48:49], v33, v[10:11]
	v_lshrrev_b32_e32 v24, 3, v11
	v_sub_u32_e32 v10, 29, v27
	v_and_b32_e32 v27, 7, v48
	v_cmp_gt_u32_e32 vcc, 8, v11
	v_cndmask_b32_e32 v10, v24, v10, vcc
	v_cndmask_b32_e32 v9, v9, v27, vcc
	v_lshlrev_b32_e32 v11, 16, v22
	v_lshlrev_b32_e32 v9, 20, v9
	v_and_b32_e32 v11, 0x80000000, v11
	v_lshl_add_u32 v10, v10, 23, v46
	v_or3_b32 v9, v11, v10, v9
.LBB4_556:                              ;   in Loop: Header=BB4_475 Depth=2
	s_or_b64 exec, exec, s[50:51]
.LBB4_557:                              ;   in Loop: Header=BB4_475 Depth=2
	s_or_b64 exec, exec, s[48:49]
.LBB4_558:                              ;   in Loop: Header=BB4_475 Depth=2
	s_or_b64 exec, exec, s[46:47]
	v_max_f32_e32 v9, v9, v9
	v_max_f32_e32 v3, v3, v3
	v_min_f32_e32 v27, v3, v9
.LBB4_559:                              ;   in Loop: Header=BB4_475 Depth=2
	s_or_b64 exec, exec, s[18:19]
	v_and_b32_sdwa v3, v27, s63 dst_sel:DWORD dst_unused:UNUSED_PAD src0_sel:BYTE_3 src1_sel:DWORD
	v_and_b32_e32 v48, 0x7f800000, v27
	v_mov_b32_e32 v49, v23
	v_and_b32_e32 v10, 0x7fffff, v27
	v_mov_b32_e32 v11, v23
	v_or_b32_e32 v9, 0x7e, v3
	v_cmp_ne_u64_e32 vcc, s[38:39], v[48:49]
	s_and_saveexec_b64 s[18:19], vcc
	s_xor_b64 s[46:47], exec, s[18:19]
	s_cbranch_execz .LBB4_569
; %bb.560:                              ;   in Loop: Header=BB4_475 Depth=2
	v_and_b32_e32 v48, 0x7fffffff, v27
	v_mov_b32_e32 v49, v23
	v_cmp_gt_u64_e32 vcc, s[40:41], v[48:49]
	s_and_saveexec_b64 s[48:49], vcc
	s_cbranch_execz .LBB4_568
; %bb.561:                              ;   in Loop: Header=BB4_475 Depth=2
	v_cmp_ne_u32_e32 vcc, 0, v27
	v_mov_b32_e32 v9, 0
	s_and_saveexec_b64 s[50:51], vcc
	s_cbranch_execz .LBB4_567
; %bb.562:                              ;   in Loop: Header=BB4_475 Depth=2
	v_bfe_u32 v9, v27, 23, 8
	v_cmp_eq_u32_e32 vcc, 0, v9
	v_add_u32_e32 v24, 0xffffff81, v9
	v_cmp_gt_u32_e64 s[18:19], s65, v9
	v_sub_u32_e32 v9, 0x79, v9
	v_cndmask_b32_e64 v9, 0, v9, s[18:19]
	v_or_b32_e32 v27, 0x800000, v10
	v_cndmask_b32_e32 v9, v9, v30, vcc
	v_cndmask_b32_e32 v10, v27, v10, vcc
	v_add_u32_e32 v27, 20, v9
	v_lshlrev_b64 v[48:49], v27, -1
	v_not_b32_e32 v27, v49
	v_not_b32_e32 v33, v48
	v_and_b32_e32 v49, 0, v27
	v_and_b32_e32 v48, v10, v33
	v_add_u32_e32 v27, 19, v9
	v_lshrrev_b64 v[10:11], v9, v[10:11]
	v_cndmask_b32_e32 v24, v24, v47, vcc
	v_lshlrev_b64 v[54:55], v27, 1
	v_lshrrev_b32_e32 v27, 23, v10
	v_add3_u32 v27, v9, v24, v27
	v_bfe_u32 v9, v10, 20, 1
	v_cmp_eq_u64_e32 vcc, v[48:49], v[54:55]
	v_add_u32_e32 v9, -1, v9
	v_cndmask_b32_e32 v9, 0, v9, vcc
	v_add_u32_e32 v9, v9, v10
	v_and_b32_e32 v9, 0xfffff, v9
	v_add_co_u32_e32 v10, vcc, v9, v10
	v_add_u32_e32 v24, 6, v27
	v_addc_co_u32_e32 v11, vcc, 0, v11, vcc
	v_cmp_ne_u32_e32 vcc, 0, v24
                                        ; implicit-def: $vgpr9
	s_and_saveexec_b64 s[18:19], vcc
	s_xor_b64 s[18:19], exec, s[18:19]
; %bb.563:                              ;   in Loop: Header=BB4_475 Depth=2
	v_add_u32_e32 v9, 7, v27
	v_cmp_lt_u64_e32 vcc, s[42:43], v[10:11]
	v_cndmask_b32_e32 v9, v24, v9, vcc
	v_cndmask_b32_e64 v24, 0, 1, vcc
	v_lshrrev_b64 v[10:11], v24, v[10:11]
; %bb.564:                              ;   in Loop: Header=BB4_475 Depth=2
	s_andn2_saveexec_b64 s[18:19], s[18:19]
; %bb.565:                              ;   in Loop: Header=BB4_475 Depth=2
	v_bfe_u32 v9, v10, 23, 1
; %bb.566:                              ;   in Loop: Header=BB4_475 Depth=2
	s_or_b64 exec, exec, s[18:19]
	v_lshrrev_b64 v[10:11], 20, v[10:11]
	v_cmp_gt_i32_e32 vcc, 16, v9
	v_cndmask_b32_e32 v11, 0, v11, vcc
	v_cndmask_b32_e32 v10, 7, v10, vcc
	v_cmp_eq_u32_e32 vcc, 0, v9
	v_min_i32_e32 v9, 15, v9
	v_cmp_eq_u64_e64 s[18:19], 0, v[10:11]
	v_lshlrev_b32_e32 v9, 3, v9
	v_and_or_b32 v9, v10, 7, v9
	s_and_b64 s[18:19], vcc, s[18:19]
	v_cndmask_b32_e64 v9, v9, 0, s[18:19]
	v_accvgpr_read_b32 v55, a9
	v_or_b32_e32 v9, v9, v3
	v_accvgpr_read_b32 v54, a8
.LBB4_567:                              ;   in Loop: Header=BB4_475 Depth=2
	s_or_b64 exec, exec, s[50:51]
.LBB4_568:                              ;   in Loop: Header=BB4_475 Depth=2
	s_or_b64 exec, exec, s[48:49]
                                        ; implicit-def: $vgpr27
                                        ; implicit-def: $vgpr10_vgpr11
.LBB4_569:                              ;   in Loop: Header=BB4_475 Depth=2
	s_andn2_saveexec_b64 s[18:19], s[46:47]
; %bb.570:                              ;   in Loop: Header=BB4_475 Depth=2
	v_or_b32_sdwa v3, v27, s64 dst_sel:DWORD dst_unused:UNUSED_PAD src0_sel:BYTE_3 src1_sel:DWORD
	v_cmp_eq_u64_e32 vcc, 0, v[10:11]
	v_cndmask_b32_e32 v9, v3, v9, vcc
; %bb.571:                              ;   in Loop: Header=BB4_475 Depth=2
	s_or_b64 exec, exec, s[18:19]
	v_lshrrev_b32_e32 v24, 16, v2
	v_lshrrev_b32_e32 v10, 16, v22
	v_cmp_ne_u16_sdwa s[18:19], v24, v23 src0_sel:BYTE_0 src1_sel:DWORD
                                        ; implicit-def: $vgpr33
	s_and_saveexec_b64 vcc, s[14:15]
	s_xor_b64 s[46:47], exec, vcc
	s_cbranch_execz .LBB4_585
; %bb.572:                              ;   in Loop: Header=BB4_475 Depth=2
	v_mov_b32_e32 v3, 0
	v_mov_b32_e32 v11, 0
	s_and_saveexec_b64 s[48:49], s[18:19]
	s_cbranch_execz .LBB4_578
; %bb.573:                              ;   in Loop: Header=BB4_475 Depth=2
	v_cmp_ne_u16_sdwa vcc, v24, s63 src0_sel:BYTE_0 src1_sel:DWORD
	v_bfrev_b32_e32 v11, 1
	s_and_saveexec_b64 s[50:51], vcc
	s_cbranch_execz .LBB4_577
; %bb.574:                              ;   in Loop: Header=BB4_475 Depth=2
	v_bfe_u32 v27, v2, 16, 7
	v_cmp_ne_u32_e32 vcc, s64, v27
	v_mov_b32_e32 v11, 0x7f800001
	s_and_saveexec_b64 s[52:53], vcc
	s_cbranch_execz .LBB4_576
; %bb.575:                              ;   in Loop: Header=BB4_475 Depth=2
	v_and_b32_e32 v11, 7, v24
	v_lshrrev_b32_e32 v33, 3, v27
	v_cmp_gt_u32_e32 vcc, 8, v27
	v_ffbh_u32_e32 v27, v11
	v_min_u32_e32 v27, 32, v27
	v_subrev_u32_e32 v36, 28, v27
	v_lshlrev_b64 v[48:49], v36, v[24:25]
	v_sub_u32_e32 v27, 29, v27
	v_and_b32_e32 v36, 7, v48
	v_cndmask_b32_e32 v27, v33, v27, vcc
	v_cndmask_b32_e32 v11, v11, v36, vcc
	v_lshlrev_b32_e32 v24, 24, v24
	v_lshlrev_b32_e32 v11, 20, v11
	v_and_b32_e32 v24, 0x80000000, v24
	v_lshl_add_u32 v27, v27, 23, v46
	v_or3_b32 v11, v24, v27, v11
.LBB4_576:                              ;   in Loop: Header=BB4_475 Depth=2
	s_or_b64 exec, exec, s[52:53]
.LBB4_577:                              ;   in Loop: Header=BB4_475 Depth=2
	s_or_b64 exec, exec, s[50:51]
.LBB4_578:                              ;   in Loop: Header=BB4_475 Depth=2
	s_or_b64 exec, exec, s[48:49]
	v_and_b32_sdwa v24, v22, s62 dst_sel:DWORD dst_unused:UNUSED_PAD src0_sel:WORD_1 src1_sel:DWORD
	v_cmp_ne_u16_e32 vcc, 0, v24
	s_and_saveexec_b64 s[48:49], vcc
	s_cbranch_execz .LBB4_584
; %bb.579:                              ;   in Loop: Header=BB4_475 Depth=2
	v_cmp_ne_u16_e32 vcc, s63, v24
	v_bfrev_b32_e32 v3, 1
	s_and_saveexec_b64 s[50:51], vcc
	s_cbranch_execz .LBB4_583
; %bb.580:                              ;   in Loop: Header=BB4_475 Depth=2
	v_bfe_u32 v24, v22, 16, 7
	v_cmp_ne_u32_e32 vcc, s64, v24
	v_mov_b32_e32 v3, 0x7f800001
	s_and_saveexec_b64 s[52:53], vcc
	s_cbranch_execz .LBB4_582
; %bb.581:                              ;   in Loop: Header=BB4_475 Depth=2
	v_and_b32_e32 v3, 7, v10
	v_ffbh_u32_e32 v33, v3
	v_min_u32_e32 v33, 32, v33
	v_subrev_u32_e32 v36, 28, v33
	v_lshlrev_b64 v[48:49], v36, v[10:11]
	v_lshrrev_b32_e32 v27, 3, v24
	v_sub_u32_e32 v10, 29, v33
	v_and_b32_e32 v33, 7, v48
	v_cmp_gt_u32_e32 vcc, 8, v24
	v_cndmask_b32_e32 v10, v27, v10, vcc
	v_cndmask_b32_e32 v3, v3, v33, vcc
	v_lshlrev_b32_sdwa v24, v6, v22 dst_sel:DWORD dst_unused:UNUSED_PAD src0_sel:DWORD src1_sel:WORD_1
	v_lshlrev_b32_e32 v3, 20, v3
	v_and_b32_e32 v24, 0x80000000, v24
	v_lshl_add_u32 v10, v10, 23, v46
	v_or3_b32 v3, v24, v10, v3
.LBB4_582:                              ;   in Loop: Header=BB4_475 Depth=2
	s_or_b64 exec, exec, s[52:53]
.LBB4_583:                              ;   in Loop: Header=BB4_475 Depth=2
	s_or_b64 exec, exec, s[50:51]
.LBB4_584:                              ;   in Loop: Header=BB4_475 Depth=2
	s_or_b64 exec, exec, s[48:49]
	v_max_f32_e32 v3, v3, v3
	v_max_f32_e32 v10, v11, v11
	;; [unrolled: 1-line block ×3, first 2 shown]
                                        ; implicit-def: $vgpr24
                                        ; implicit-def: $vgpr10
.LBB4_585:                              ;   in Loop: Header=BB4_475 Depth=2
	s_andn2_saveexec_b64 s[46:47], s[46:47]
	s_cbranch_execz .LBB4_599
; %bb.586:                              ;   in Loop: Header=BB4_475 Depth=2
	v_mov_b32_e32 v3, 0
	v_mov_b32_e32 v11, 0
	s_and_saveexec_b64 s[48:49], s[18:19]
	s_cbranch_execz .LBB4_592
; %bb.587:                              ;   in Loop: Header=BB4_475 Depth=2
	v_cmp_ne_u16_sdwa vcc, v24, s63 src0_sel:BYTE_0 src1_sel:DWORD
	v_bfrev_b32_e32 v11, 1
	s_and_saveexec_b64 s[18:19], vcc
	s_cbranch_execz .LBB4_591
; %bb.588:                              ;   in Loop: Header=BB4_475 Depth=2
	v_bfe_u32 v27, v2, 16, 7
	v_cmp_ne_u32_e32 vcc, s64, v27
	v_mov_b32_e32 v11, 0x7f800001
	s_and_saveexec_b64 s[50:51], vcc
	s_cbranch_execz .LBB4_590
; %bb.589:                              ;   in Loop: Header=BB4_475 Depth=2
	v_and_b32_e32 v11, 7, v24
	v_lshrrev_b32_e32 v33, 3, v27
	v_cmp_gt_u32_e32 vcc, 8, v27
	v_ffbh_u32_e32 v27, v11
	v_min_u32_e32 v27, 32, v27
	v_subrev_u32_e32 v36, 28, v27
	v_lshlrev_b64 v[48:49], v36, v[24:25]
	v_sub_u32_e32 v27, 29, v27
	v_and_b32_e32 v36, 7, v48
	v_cndmask_b32_e32 v27, v33, v27, vcc
	v_cndmask_b32_e32 v11, v11, v36, vcc
	v_lshlrev_b32_e32 v24, 24, v24
	v_lshlrev_b32_e32 v11, 20, v11
	v_and_b32_e32 v24, 0x80000000, v24
	v_lshl_add_u32 v27, v27, 23, v46
	v_or3_b32 v11, v24, v27, v11
.LBB4_590:                              ;   in Loop: Header=BB4_475 Depth=2
	s_or_b64 exec, exec, s[50:51]
.LBB4_591:                              ;   in Loop: Header=BB4_475 Depth=2
	s_or_b64 exec, exec, s[18:19]
.LBB4_592:                              ;   in Loop: Header=BB4_475 Depth=2
	s_or_b64 exec, exec, s[48:49]
	v_and_b32_sdwa v24, v22, s62 dst_sel:DWORD dst_unused:UNUSED_PAD src0_sel:WORD_1 src1_sel:DWORD
	v_cmp_ne_u16_e32 vcc, 0, v24
	s_and_saveexec_b64 s[18:19], vcc
	s_cbranch_execz .LBB4_598
; %bb.593:                              ;   in Loop: Header=BB4_475 Depth=2
	v_cmp_ne_u16_e32 vcc, s63, v24
	v_bfrev_b32_e32 v3, 1
	s_and_saveexec_b64 s[48:49], vcc
	s_cbranch_execz .LBB4_597
; %bb.594:                              ;   in Loop: Header=BB4_475 Depth=2
	v_bfe_u32 v24, v22, 16, 7
	v_cmp_ne_u32_e32 vcc, s64, v24
	v_mov_b32_e32 v3, 0x7f800001
	s_and_saveexec_b64 s[50:51], vcc
	s_cbranch_execz .LBB4_596
; %bb.595:                              ;   in Loop: Header=BB4_475 Depth=2
	v_and_b32_e32 v3, 7, v10
	v_ffbh_u32_e32 v33, v3
	v_min_u32_e32 v33, 32, v33
	v_subrev_u32_e32 v36, 28, v33
	v_lshlrev_b64 v[48:49], v36, v[10:11]
	v_lshrrev_b32_e32 v27, 3, v24
	v_sub_u32_e32 v10, 29, v33
	v_and_b32_e32 v33, 7, v48
	v_cmp_gt_u32_e32 vcc, 8, v24
	v_cndmask_b32_e32 v10, v27, v10, vcc
	v_cndmask_b32_e32 v3, v3, v33, vcc
	v_lshlrev_b32_sdwa v24, v6, v22 dst_sel:DWORD dst_unused:UNUSED_PAD src0_sel:DWORD src1_sel:WORD_1
	v_lshlrev_b32_e32 v3, 20, v3
	v_and_b32_e32 v24, 0x80000000, v24
	v_lshl_add_u32 v10, v10, 23, v46
	v_or3_b32 v3, v24, v10, v3
.LBB4_596:                              ;   in Loop: Header=BB4_475 Depth=2
	s_or_b64 exec, exec, s[50:51]
.LBB4_597:                              ;   in Loop: Header=BB4_475 Depth=2
	s_or_b64 exec, exec, s[48:49]
.LBB4_598:                              ;   in Loop: Header=BB4_475 Depth=2
	s_or_b64 exec, exec, s[18:19]
	v_max_f32_e32 v3, v3, v3
	v_max_f32_e32 v10, v11, v11
	v_min_f32_e32 v33, v10, v3
.LBB4_599:                              ;   in Loop: Header=BB4_475 Depth=2
	s_or_b64 exec, exec, s[46:47]
	v_and_b32_sdwa v3, v33, s63 dst_sel:DWORD dst_unused:UNUSED_PAD src0_sel:BYTE_3 src1_sel:DWORD
	v_and_b32_e32 v48, 0x7f800000, v33
	v_mov_b32_e32 v49, v23
	v_and_b32_e32 v10, 0x7fffff, v33
	v_mov_b32_e32 v11, v23
	v_or_b32_e32 v27, 0x7e, v3
	v_cmp_ne_u64_e32 vcc, s[38:39], v[48:49]
	s_and_saveexec_b64 s[18:19], vcc
	s_xor_b64 s[46:47], exec, s[18:19]
	s_cbranch_execz .LBB4_609
; %bb.600:                              ;   in Loop: Header=BB4_475 Depth=2
	v_and_b32_e32 v48, 0x7fffffff, v33
	v_mov_b32_e32 v49, v23
	v_cmp_gt_u64_e32 vcc, s[40:41], v[48:49]
	s_and_saveexec_b64 s[48:49], vcc
	s_cbranch_execz .LBB4_608
; %bb.601:                              ;   in Loop: Header=BB4_475 Depth=2
	v_cmp_ne_u32_e32 vcc, 0, v33
	v_mov_b32_e32 v27, 0
	s_and_saveexec_b64 s[50:51], vcc
	s_cbranch_execz .LBB4_607
; %bb.602:                              ;   in Loop: Header=BB4_475 Depth=2
	v_bfe_u32 v24, v33, 23, 8
	v_sub_u32_e32 v33, 0x79, v24
	v_cmp_gt_u32_e32 vcc, s65, v24
	v_add_u32_e32 v27, 0xffffff81, v24
	v_cndmask_b32_e32 v33, 0, v33, vcc
	v_cmp_eq_u32_e32 vcc, 0, v24
	v_cndmask_b32_e32 v24, v27, v47, vcc
	v_cndmask_b32_e32 v27, v33, v30, vcc
	v_add_u32_e32 v33, 20, v27
	v_or_b32_e32 v36, 0x800000, v10
	v_lshlrev_b64 v[48:49], v33, -1
	v_cndmask_b32_e32 v10, v36, v10, vcc
	v_not_b32_e32 v33, v49
	v_not_b32_e32 v36, v48
	v_and_b32_e32 v49, 0, v33
	v_and_b32_e32 v48, v10, v36
	v_add_u32_e32 v33, 19, v27
	v_lshrrev_b64 v[10:11], v27, v[10:11]
	v_lshlrev_b64 v[54:55], v33, 1
	v_lshrrev_b32_e32 v33, 23, v10
	v_add3_u32 v33, v27, v24, v33
	v_bfe_u32 v24, v10, 20, 1
	v_add_u32_e32 v24, -1, v24
	v_cmp_eq_u64_e32 vcc, v[48:49], v[54:55]
	v_cndmask_b32_e32 v24, 0, v24, vcc
	v_add_u32_e32 v24, v24, v10
	v_and_b32_e32 v24, 0xfffff, v24
	v_add_co_u32_e32 v10, vcc, v24, v10
	v_add_u32_e32 v27, 6, v33
	v_addc_co_u32_e32 v11, vcc, 0, v11, vcc
	v_cmp_ne_u32_e32 vcc, 0, v27
                                        ; implicit-def: $vgpr24
	s_and_saveexec_b64 s[18:19], vcc
	s_xor_b64 s[18:19], exec, s[18:19]
; %bb.603:                              ;   in Loop: Header=BB4_475 Depth=2
	v_add_u32_e32 v24, 7, v33
	v_cmp_lt_u64_e32 vcc, s[42:43], v[10:11]
	v_cndmask_b32_e32 v24, v27, v24, vcc
	v_cndmask_b32_e64 v27, 0, 1, vcc
	v_lshrrev_b64 v[10:11], v27, v[10:11]
; %bb.604:                              ;   in Loop: Header=BB4_475 Depth=2
	s_andn2_saveexec_b64 s[18:19], s[18:19]
; %bb.605:                              ;   in Loop: Header=BB4_475 Depth=2
	v_bfe_u32 v24, v10, 23, 1
; %bb.606:                              ;   in Loop: Header=BB4_475 Depth=2
	s_or_b64 exec, exec, s[18:19]
	v_lshrrev_b64 v[10:11], 20, v[10:11]
	v_cmp_gt_i32_e32 vcc, 16, v24
	v_cndmask_b32_e32 v11, 0, v11, vcc
	v_cndmask_b32_e32 v10, 7, v10, vcc
	v_cmp_eq_u64_e64 s[18:19], 0, v[10:11]
	v_min_i32_e32 v11, 15, v24
	v_cmp_eq_u32_e32 vcc, 0, v24
	v_lshlrev_b32_e32 v11, 3, v11
	v_and_or_b32 v10, v10, 7, v11
	s_and_b64 s[18:19], vcc, s[18:19]
	v_cndmask_b32_e64 v10, v10, 0, s[18:19]
	v_accvgpr_read_b32 v55, a9
	v_or_b32_e32 v27, v10, v3
	v_accvgpr_read_b32 v54, a8
.LBB4_607:                              ;   in Loop: Header=BB4_475 Depth=2
	s_or_b64 exec, exec, s[50:51]
.LBB4_608:                              ;   in Loop: Header=BB4_475 Depth=2
	s_or_b64 exec, exec, s[48:49]
                                        ; implicit-def: $vgpr33
                                        ; implicit-def: $vgpr10_vgpr11
.LBB4_609:                              ;   in Loop: Header=BB4_475 Depth=2
	s_andn2_saveexec_b64 s[18:19], s[46:47]
; %bb.610:                              ;   in Loop: Header=BB4_475 Depth=2
	v_or_b32_sdwa v3, v33, s64 dst_sel:DWORD dst_unused:UNUSED_PAD src0_sel:BYTE_3 src1_sel:DWORD
	v_cmp_eq_u64_e32 vcc, 0, v[10:11]
	v_cndmask_b32_e32 v27, v3, v27, vcc
; %bb.611:                              ;   in Loop: Header=BB4_475 Depth=2
	s_or_b64 exec, exec, s[18:19]
	v_lshrrev_b32_e32 v24, 24, v2
	v_lshrrev_b32_e32 v10, 24, v22
	v_cmp_lt_u32_e32 vcc, s66, v2
                                        ; implicit-def: $vgpr3
	s_and_saveexec_b64 s[18:19], s[14:15]
	s_xor_b64 s[46:47], exec, s[18:19]
	s_cbranch_execz .LBB4_625
; %bb.612:                              ;   in Loop: Header=BB4_475 Depth=2
	v_mov_b32_e32 v11, 0
	v_mov_b32_e32 v3, 0
	s_and_saveexec_b64 s[48:49], vcc
	s_cbranch_execz .LBB4_618
; %bb.613:                              ;   in Loop: Header=BB4_475 Depth=2
	v_cmp_ne_u32_e64 s[18:19], s63, v24
	v_bfrev_b32_e32 v3, 1
	s_and_saveexec_b64 s[50:51], s[18:19]
	s_cbranch_execz .LBB4_617
; %bb.614:                              ;   in Loop: Header=BB4_475 Depth=2
	v_bfe_u32 v2, v2, 24, 7
	v_cmp_ne_u32_e64 s[18:19], s64, v2
	v_mov_b32_e32 v3, 0x7f800001
	s_and_saveexec_b64 s[52:53], s[18:19]
	s_cbranch_execz .LBB4_616
; %bb.615:                              ;   in Loop: Header=BB4_475 Depth=2
	v_and_b32_e32 v3, 7, v24
	v_ffbh_u32_e32 v36, v3
	v_min_u32_e32 v36, 32, v36
	v_subrev_u32_e32 v37, 28, v36
	v_lshlrev_b64 v[48:49], v37, v[24:25]
	v_lshrrev_b32_e32 v33, 3, v2
	v_sub_u32_e32 v36, 29, v36
	v_and_b32_e32 v37, 7, v48
	v_cmp_gt_u32_e64 s[18:19], 8, v2
	v_cndmask_b32_e64 v2, v33, v36, s[18:19]
	v_cndmask_b32_e64 v3, v3, v37, s[18:19]
	v_lshlrev_b32_e32 v24, 24, v24
	v_lshlrev_b32_e32 v3, 20, v3
	v_and_b32_e32 v24, 0x80000000, v24
	v_lshl_add_u32 v2, v2, 23, v46
	v_or3_b32 v3, v24, v2, v3
.LBB4_616:                              ;   in Loop: Header=BB4_475 Depth=2
	s_or_b64 exec, exec, s[52:53]
.LBB4_617:                              ;   in Loop: Header=BB4_475 Depth=2
	s_or_b64 exec, exec, s[50:51]
.LBB4_618:                              ;   in Loop: Header=BB4_475 Depth=2
	s_or_b64 exec, exec, s[48:49]
	v_cmp_lt_u32_e64 s[18:19], s66, v22
	s_and_saveexec_b64 s[48:49], s[18:19]
	s_cbranch_execz .LBB4_624
; %bb.619:                              ;   in Loop: Header=BB4_475 Depth=2
	v_cmp_ne_u32_sdwa s[18:19], v22, s63 src0_sel:BYTE_3 src1_sel:DWORD
	v_bfrev_b32_e32 v11, 1
	s_and_saveexec_b64 s[50:51], s[18:19]
	s_cbranch_execz .LBB4_623
; %bb.620:                              ;   in Loop: Header=BB4_475 Depth=2
	v_bfe_u32 v2, v22, 24, 7
	v_cmp_ne_u32_e64 s[18:19], s64, v2
	v_mov_b32_e32 v11, 0x7f800001
	s_and_saveexec_b64 s[52:53], s[18:19]
	s_cbranch_execz .LBB4_622
; %bb.621:                              ;   in Loop: Header=BB4_475 Depth=2
	v_and_b32_e32 v24, 7, v10
	v_ffbh_u32_e32 v11, v24
	v_min_u32_e32 v36, 32, v11
	v_subrev_u32_e32 v11, 28, v36
	v_lshlrev_b64 v[10:11], v11, v[10:11]
	v_lshrrev_b32_e32 v33, 3, v2
	v_sub_u32_e32 v11, 29, v36
	v_and_b32_e32 v10, 7, v10
	v_cmp_gt_u32_e64 s[18:19], 8, v2
	v_cndmask_b32_e64 v2, v33, v11, s[18:19]
	v_cndmask_b32_e64 v10, v24, v10, s[18:19]
	v_lshlrev_b32_sdwa v11, v6, v22 dst_sel:DWORD dst_unused:UNUSED_PAD src0_sel:DWORD src1_sel:BYTE_3
	v_lshlrev_b32_e32 v10, 20, v10
	v_and_b32_e32 v11, 0x80000000, v11
	v_lshl_add_u32 v2, v2, 23, v46
	v_or3_b32 v11, v11, v2, v10
.LBB4_622:                              ;   in Loop: Header=BB4_475 Depth=2
	s_or_b64 exec, exec, s[52:53]
.LBB4_623:                              ;   in Loop: Header=BB4_475 Depth=2
	s_or_b64 exec, exec, s[50:51]
.LBB4_624:                              ;   in Loop: Header=BB4_475 Depth=2
	s_or_b64 exec, exec, s[48:49]
	v_max_f32_e32 v2, v11, v11
	v_max_f32_e32 v3, v3, v3
	;; [unrolled: 1-line block ×3, first 2 shown]
                                        ; implicit-def: $vgpr24
                                        ; implicit-def: $vgpr10
.LBB4_625:                              ;   in Loop: Header=BB4_475 Depth=2
	s_andn2_saveexec_b64 s[18:19], s[46:47]
	s_cbranch_execz .LBB4_639
; %bb.626:                              ;   in Loop: Header=BB4_475 Depth=2
	v_mov_b32_e32 v11, 0
	v_mov_b32_e32 v3, 0
	s_and_saveexec_b64 s[46:47], vcc
	s_cbranch_execz .LBB4_632
; %bb.627:                              ;   in Loop: Header=BB4_475 Depth=2
	v_cmp_ne_u32_e32 vcc, s63, v24
	v_bfrev_b32_e32 v3, 1
	s_and_saveexec_b64 s[48:49], vcc
	s_cbranch_execz .LBB4_631
; %bb.628:                              ;   in Loop: Header=BB4_475 Depth=2
	v_bfe_u32 v2, v2, 24, 7
	v_cmp_ne_u32_e32 vcc, s64, v2
	v_mov_b32_e32 v3, 0x7f800001
	s_and_saveexec_b64 s[50:51], vcc
	s_cbranch_execz .LBB4_630
; %bb.629:                              ;   in Loop: Header=BB4_475 Depth=2
	v_and_b32_e32 v3, 7, v24
	v_ffbh_u32_e32 v36, v3
	v_min_u32_e32 v36, 32, v36
	v_subrev_u32_e32 v37, 28, v36
	v_lshlrev_b64 v[48:49], v37, v[24:25]
	v_lshrrev_b32_e32 v33, 3, v2
	v_sub_u32_e32 v36, 29, v36
	v_and_b32_e32 v37, 7, v48
	v_cmp_gt_u32_e32 vcc, 8, v2
	v_cndmask_b32_e32 v2, v33, v36, vcc
	v_cndmask_b32_e32 v3, v3, v37, vcc
	v_lshlrev_b32_e32 v24, 24, v24
	v_lshlrev_b32_e32 v3, 20, v3
	v_and_b32_e32 v24, 0x80000000, v24
	v_lshl_add_u32 v2, v2, 23, v46
	v_or3_b32 v3, v24, v2, v3
.LBB4_630:                              ;   in Loop: Header=BB4_475 Depth=2
	s_or_b64 exec, exec, s[50:51]
.LBB4_631:                              ;   in Loop: Header=BB4_475 Depth=2
	s_or_b64 exec, exec, s[48:49]
.LBB4_632:                              ;   in Loop: Header=BB4_475 Depth=2
	s_or_b64 exec, exec, s[46:47]
	v_cmp_lt_u32_e32 vcc, s66, v22
	s_and_saveexec_b64 s[46:47], vcc
	s_cbranch_execz .LBB4_638
; %bb.633:                              ;   in Loop: Header=BB4_475 Depth=2
	v_cmp_ne_u32_sdwa vcc, v22, s63 src0_sel:BYTE_3 src1_sel:DWORD
	v_bfrev_b32_e32 v11, 1
	s_and_saveexec_b64 s[48:49], vcc
	s_cbranch_execz .LBB4_637
; %bb.634:                              ;   in Loop: Header=BB4_475 Depth=2
	v_bfe_u32 v2, v22, 24, 7
	v_cmp_ne_u32_e32 vcc, s64, v2
	v_mov_b32_e32 v11, 0x7f800001
	s_and_saveexec_b64 s[50:51], vcc
	s_cbranch_execz .LBB4_636
; %bb.635:                              ;   in Loop: Header=BB4_475 Depth=2
	v_and_b32_e32 v24, 7, v10
	v_ffbh_u32_e32 v11, v24
	v_min_u32_e32 v36, 32, v11
	v_subrev_u32_e32 v11, 28, v36
	v_lshlrev_b64 v[10:11], v11, v[10:11]
	v_lshrrev_b32_e32 v33, 3, v2
	v_sub_u32_e32 v11, 29, v36
	v_and_b32_e32 v10, 7, v10
	v_cmp_gt_u32_e32 vcc, 8, v2
	v_cndmask_b32_e32 v2, v33, v11, vcc
	v_cndmask_b32_e32 v10, v24, v10, vcc
	v_lshlrev_b32_sdwa v11, v6, v22 dst_sel:DWORD dst_unused:UNUSED_PAD src0_sel:DWORD src1_sel:BYTE_3
	v_lshlrev_b32_e32 v10, 20, v10
	v_and_b32_e32 v11, 0x80000000, v11
	v_lshl_add_u32 v2, v2, 23, v46
	v_or3_b32 v11, v11, v2, v10
.LBB4_636:                              ;   in Loop: Header=BB4_475 Depth=2
	s_or_b64 exec, exec, s[50:51]
.LBB4_637:                              ;   in Loop: Header=BB4_475 Depth=2
	s_or_b64 exec, exec, s[48:49]
.LBB4_638:                              ;   in Loop: Header=BB4_475 Depth=2
	s_or_b64 exec, exec, s[46:47]
	v_max_f32_e32 v2, v11, v11
	v_max_f32_e32 v3, v3, v3
	v_min_f32_e32 v3, v3, v2
.LBB4_639:                              ;   in Loop: Header=BB4_475 Depth=2
	s_or_b64 exec, exec, s[18:19]
	v_and_b32_sdwa v10, v3, s63 dst_sel:DWORD dst_unused:UNUSED_PAD src0_sel:BYTE_3 src1_sel:DWORD
	v_and_b32_e32 v48, 0x7f800000, v3
	v_mov_b32_e32 v49, v23
	v_and_b32_e32 v22, 0x7fffff, v3
	v_or_b32_e32 v11, 0x7e, v10
	v_cmp_ne_u64_e32 vcc, s[38:39], v[48:49]
	s_and_saveexec_b64 s[18:19], vcc
	s_xor_b64 s[46:47], exec, s[18:19]
	s_cbranch_execz .LBB4_649
; %bb.640:                              ;   in Loop: Header=BB4_475 Depth=2
	v_and_b32_e32 v48, 0x7fffffff, v3
	v_mov_b32_e32 v49, v23
	v_cmp_gt_u64_e32 vcc, s[40:41], v[48:49]
	s_and_saveexec_b64 s[48:49], vcc
	s_cbranch_execz .LBB4_648
; %bb.641:                              ;   in Loop: Header=BB4_475 Depth=2
	v_cmp_ne_u32_e32 vcc, 0, v3
	v_mov_b32_e32 v11, 0
	s_and_saveexec_b64 s[50:51], vcc
	s_cbranch_execz .LBB4_647
; %bb.642:                              ;   in Loop: Header=BB4_475 Depth=2
	v_bfe_u32 v2, v3, 23, 8
	v_sub_u32_e32 v11, 0x79, v2
	v_cmp_gt_u32_e32 vcc, s65, v2
	v_cndmask_b32_e32 v11, 0, v11, vcc
	v_cmp_eq_u32_e32 vcc, 0, v2
	v_cndmask_b32_e32 v11, v11, v30, vcc
	v_add_u32_e32 v3, 0xffffff81, v2
	v_or_b32_e32 v24, 0x800000, v22
	v_add_u32_e32 v2, 20, v11
	v_cndmask_b32_e32 v33, v3, v47, vcc
	v_cndmask_b32_e32 v22, v24, v22, vcc
	v_lshlrev_b64 v[2:3], v2, -1
	v_not_b32_e32 v2, v2
	v_lshrrev_b64 v[54:55], v11, v[22:23]
	v_not_b32_e32 v3, v3
	v_and_b32_e32 v2, v22, v2
	v_add_u32_e32 v24, 19, v11
	v_lshrrev_b32_e32 v22, 23, v54
	v_and_b32_e32 v3, 0, v3
	v_lshlrev_b64 v[48:49], v24, 1
	v_add3_u32 v33, v11, v33, v22
	v_bfe_u32 v11, v54, 20, 1
	v_add_u32_e32 v11, -1, v11
	v_cmp_eq_u64_e32 vcc, v[2:3], v[48:49]
	v_cndmask_b32_e32 v2, 0, v11, vcc
	v_add_u32_e32 v2, v2, v54
	v_and_b32_e32 v2, 0xfffff, v2
	v_add_co_u32_e32 v2, vcc, v2, v54
	v_add_u32_e32 v24, 6, v33
	v_addc_co_u32_e32 v3, vcc, 0, v55, vcc
	v_cmp_ne_u32_e32 vcc, 0, v24
                                        ; implicit-def: $vgpr11
	s_and_saveexec_b64 s[18:19], vcc
	s_xor_b64 s[18:19], exec, s[18:19]
; %bb.643:                              ;   in Loop: Header=BB4_475 Depth=2
	v_cmp_lt_u64_e32 vcc, s[42:43], v[2:3]
	v_add_u32_e32 v11, 7, v33
	v_cndmask_b32_e64 v22, 0, 1, vcc
	v_cndmask_b32_e32 v11, v24, v11, vcc
	v_lshrrev_b64 v[2:3], v22, v[2:3]
; %bb.644:                              ;   in Loop: Header=BB4_475 Depth=2
	s_andn2_saveexec_b64 s[18:19], s[18:19]
; %bb.645:                              ;   in Loop: Header=BB4_475 Depth=2
	v_bfe_u32 v11, v2, 23, 1
; %bb.646:                              ;   in Loop: Header=BB4_475 Depth=2
	s_or_b64 exec, exec, s[18:19]
	v_lshrrev_b64 v[2:3], 20, v[2:3]
	v_cmp_gt_i32_e32 vcc, 16, v11
	v_cndmask_b32_e32 v3, 0, v3, vcc
	v_cndmask_b32_e32 v2, 7, v2, vcc
	v_cmp_eq_u64_e64 s[18:19], 0, v[2:3]
	v_min_i32_e32 v3, 15, v11
	v_cmp_eq_u32_e32 vcc, 0, v11
	v_lshlrev_b32_e32 v3, 3, v3
	v_and_or_b32 v2, v2, 7, v3
	s_and_b64 s[18:19], vcc, s[18:19]
	v_cndmask_b32_e64 v2, v2, 0, s[18:19]
	v_accvgpr_read_b32 v55, a9
	v_or_b32_e32 v11, v2, v10
	v_accvgpr_read_b32 v54, a8
.LBB4_647:                              ;   in Loop: Header=BB4_475 Depth=2
	s_or_b64 exec, exec, s[50:51]
.LBB4_648:                              ;   in Loop: Header=BB4_475 Depth=2
	s_or_b64 exec, exec, s[48:49]
                                        ; implicit-def: $vgpr3
.LBB4_649:                              ;   in Loop: Header=BB4_475 Depth=2
	s_andn2_saveexec_b64 s[18:19], s[46:47]
; %bb.650:                              ;   in Loop: Header=BB4_475 Depth=2
	v_or_b32_sdwa v2, v3, s64 dst_sel:DWORD dst_unused:UNUSED_PAD src0_sel:BYTE_3 src1_sel:DWORD
	v_cmp_eq_u64_e32 vcc, 0, v[22:23]
	v_cndmask_b32_e32 v11, v2, v11, vcc
; %bb.651:                              ;   in Loop: Header=BB4_475 Depth=2
	s_or_b64 exec, exec, s[18:19]
	v_alignbit_b32 v22, v31, v32, v5
	v_mov_b32_e32 v5, v23
	v_cmp_ne_u16_sdwa s[18:19], v4, v23 src0_sel:BYTE_0 src1_sel:DWORD
                                        ; implicit-def: $vgpr10
	s_and_saveexec_b64 vcc, s[14:15]
	s_xor_b64 s[46:47], exec, vcc
	s_cbranch_execz .LBB4_665
; %bb.652:                              ;   in Loop: Header=BB4_475 Depth=2
	v_mov_b32_e32 v3, 0
	v_mov_b32_e32 v2, 0
	s_and_saveexec_b64 s[48:49], s[18:19]
	s_cbranch_execz .LBB4_658
; %bb.653:                              ;   in Loop: Header=BB4_475 Depth=2
	v_cmp_ne_u16_sdwa vcc, v4, s63 src0_sel:BYTE_0 src1_sel:DWORD
	v_bfrev_b32_e32 v2, 1
	s_and_saveexec_b64 s[50:51], vcc
	s_cbranch_execz .LBB4_657
; %bb.654:                              ;   in Loop: Header=BB4_475 Depth=2
	v_and_b32_e32 v10, 0x7f, v4
	v_cmp_ne_u32_e32 vcc, s64, v10
	v_mov_b32_e32 v2, 0x7f800001
	s_and_saveexec_b64 s[52:53], vcc
	s_cbranch_execz .LBB4_656
; %bb.655:                              ;   in Loop: Header=BB4_475 Depth=2
	v_and_b32_e32 v2, 7, v4
	v_ffbh_u32_e32 v2, v2
	v_min_u32_e32 v2, 32, v2
	v_subrev_u32_e32 v31, 28, v2
	v_cmp_gt_u32_e32 vcc, 8, v10
	v_lshrrev_b32_e32 v24, 3, v10
	v_cndmask_b32_e32 v10, 0, v31, vcc
	v_sub_u32_e32 v2, 29, v2
	v_lshlrev_b64 v[32:33], v10, v[4:5]
	v_cndmask_b32_e32 v2, v24, v2, vcc
	v_lshlrev_b32_e32 v5, 20, v32
	v_lshlrev_b32_e32 v10, 24, v4
	v_and_b32_e32 v5, 0x700000, v5
	v_and_b32_e32 v10, 0x80000000, v10
	v_lshl_add_u32 v2, v2, 23, v46
	v_or3_b32 v2, v10, v2, v5
.LBB4_656:                              ;   in Loop: Header=BB4_475 Depth=2
	s_or_b64 exec, exec, s[52:53]
.LBB4_657:                              ;   in Loop: Header=BB4_475 Depth=2
	s_or_b64 exec, exec, s[50:51]
.LBB4_658:                              ;   in Loop: Header=BB4_475 Depth=2
	s_or_b64 exec, exec, s[48:49]
	v_cmp_ne_u16_sdwa vcc, v22, v23 src0_sel:BYTE_0 src1_sel:DWORD
	s_and_saveexec_b64 s[48:49], vcc
	s_cbranch_execz .LBB4_664
; %bb.659:                              ;   in Loop: Header=BB4_475 Depth=2
	v_cmp_ne_u16_sdwa vcc, v22, s63 src0_sel:BYTE_0 src1_sel:DWORD
	v_bfrev_b32_e32 v3, 1
	s_and_saveexec_b64 s[50:51], vcc
	s_cbranch_execz .LBB4_663
; %bb.660:                              ;   in Loop: Header=BB4_475 Depth=2
	v_and_b32_e32 v5, 0x7f, v22
	v_cmp_ne_u32_e32 vcc, s64, v5
	v_mov_b32_e32 v3, 0x7f800001
	s_and_saveexec_b64 s[52:53], vcc
	s_cbranch_execz .LBB4_662
; %bb.661:                              ;   in Loop: Header=BB4_475 Depth=2
	v_and_b32_e32 v3, 7, v22
	v_ffbh_u32_e32 v3, v3
	v_min_u32_e32 v3, 32, v3
	v_subrev_u32_e32 v24, 28, v3
	v_cmp_gt_u32_e32 vcc, 8, v5
	v_lshrrev_b32_e32 v10, 3, v5
	v_cndmask_b32_e32 v5, 0, v24, vcc
	v_sub_u32_e32 v3, 29, v3
	v_lshlrev_b64 v[32:33], v5, v[22:23]
	v_cndmask_b32_e32 v3, v10, v3, vcc
	v_lshlrev_b32_e32 v5, 20, v32
	v_lshlrev_b32_e32 v10, 24, v22
	v_and_b32_e32 v5, 0x700000, v5
	v_and_b32_e32 v10, 0x80000000, v10
	v_lshl_add_u32 v3, v3, 23, v46
	v_or3_b32 v3, v10, v3, v5
.LBB4_662:                              ;   in Loop: Header=BB4_475 Depth=2
	s_or_b64 exec, exec, s[52:53]
.LBB4_663:                              ;   in Loop: Header=BB4_475 Depth=2
	s_or_b64 exec, exec, s[50:51]
.LBB4_664:                              ;   in Loop: Header=BB4_475 Depth=2
	s_or_b64 exec, exec, s[48:49]
	v_max_f32_e32 v3, v3, v3
	v_max_f32_e32 v2, v2, v2
	;; [unrolled: 1-line block ×3, first 2 shown]
.LBB4_665:                              ;   in Loop: Header=BB4_475 Depth=2
	s_andn2_saveexec_b64 s[46:47], s[46:47]
	s_cbranch_execz .LBB4_679
; %bb.666:                              ;   in Loop: Header=BB4_475 Depth=2
	v_mov_b32_e32 v3, 0
	v_mov_b32_e32 v2, 0
	s_and_saveexec_b64 s[48:49], s[18:19]
	s_cbranch_execz .LBB4_672
; %bb.667:                              ;   in Loop: Header=BB4_475 Depth=2
	v_cmp_ne_u16_sdwa vcc, v4, s63 src0_sel:BYTE_0 src1_sel:DWORD
	v_bfrev_b32_e32 v2, 1
	s_and_saveexec_b64 s[18:19], vcc
	s_cbranch_execz .LBB4_671
; %bb.668:                              ;   in Loop: Header=BB4_475 Depth=2
	v_and_b32_e32 v10, 0x7f, v4
	v_cmp_ne_u32_e32 vcc, s64, v10
	v_mov_b32_e32 v2, 0x7f800001
	s_and_saveexec_b64 s[50:51], vcc
	s_cbranch_execz .LBB4_670
; %bb.669:                              ;   in Loop: Header=BB4_475 Depth=2
	v_and_b32_e32 v2, 7, v4
	v_ffbh_u32_e32 v2, v2
	v_min_u32_e32 v2, 32, v2
	v_subrev_u32_e32 v31, 28, v2
	v_cmp_gt_u32_e32 vcc, 8, v10
	v_lshrrev_b32_e32 v24, 3, v10
	v_cndmask_b32_e32 v10, 0, v31, vcc
	v_sub_u32_e32 v2, 29, v2
	v_lshlrev_b64 v[32:33], v10, v[4:5]
	v_cndmask_b32_e32 v2, v24, v2, vcc
	v_lshlrev_b32_e32 v5, 20, v32
	v_lshlrev_b32_e32 v10, 24, v4
	v_and_b32_e32 v5, 0x700000, v5
	v_and_b32_e32 v10, 0x80000000, v10
	v_lshl_add_u32 v2, v2, 23, v46
	v_or3_b32 v2, v10, v2, v5
.LBB4_670:                              ;   in Loop: Header=BB4_475 Depth=2
	s_or_b64 exec, exec, s[50:51]
.LBB4_671:                              ;   in Loop: Header=BB4_475 Depth=2
	s_or_b64 exec, exec, s[18:19]
.LBB4_672:                              ;   in Loop: Header=BB4_475 Depth=2
	s_or_b64 exec, exec, s[48:49]
	v_cmp_ne_u16_sdwa vcc, v22, v23 src0_sel:BYTE_0 src1_sel:DWORD
	s_and_saveexec_b64 s[18:19], vcc
	s_cbranch_execz .LBB4_678
; %bb.673:                              ;   in Loop: Header=BB4_475 Depth=2
	v_cmp_ne_u16_sdwa vcc, v22, s63 src0_sel:BYTE_0 src1_sel:DWORD
	v_bfrev_b32_e32 v3, 1
	s_and_saveexec_b64 s[48:49], vcc
	s_cbranch_execz .LBB4_677
; %bb.674:                              ;   in Loop: Header=BB4_475 Depth=2
	v_and_b32_e32 v5, 0x7f, v22
	v_cmp_ne_u32_e32 vcc, s64, v5
	v_mov_b32_e32 v3, 0x7f800001
	s_and_saveexec_b64 s[50:51], vcc
	s_cbranch_execz .LBB4_676
; %bb.675:                              ;   in Loop: Header=BB4_475 Depth=2
	v_and_b32_e32 v3, 7, v22
	v_ffbh_u32_e32 v3, v3
	v_min_u32_e32 v3, 32, v3
	v_subrev_u32_e32 v24, 28, v3
	v_cmp_gt_u32_e32 vcc, 8, v5
	v_lshrrev_b32_e32 v10, 3, v5
	v_cndmask_b32_e32 v5, 0, v24, vcc
	v_sub_u32_e32 v3, 29, v3
	v_lshlrev_b64 v[32:33], v5, v[22:23]
	v_cndmask_b32_e32 v3, v10, v3, vcc
	v_lshlrev_b32_e32 v5, 20, v32
	v_lshlrev_b32_e32 v10, 24, v22
	v_and_b32_e32 v5, 0x700000, v5
	v_and_b32_e32 v10, 0x80000000, v10
	v_lshl_add_u32 v3, v3, 23, v46
	v_or3_b32 v3, v10, v3, v5
.LBB4_676:                              ;   in Loop: Header=BB4_475 Depth=2
	s_or_b64 exec, exec, s[50:51]
.LBB4_677:                              ;   in Loop: Header=BB4_475 Depth=2
	s_or_b64 exec, exec, s[48:49]
.LBB4_678:                              ;   in Loop: Header=BB4_475 Depth=2
	s_or_b64 exec, exec, s[18:19]
	v_max_f32_e32 v3, v3, v3
	v_max_f32_e32 v2, v2, v2
	v_min_f32_e32 v10, v2, v3
.LBB4_679:                              ;   in Loop: Header=BB4_475 Depth=2
	s_or_b64 exec, exec, s[46:47]
	v_and_b32_sdwa v5, v10, s63 dst_sel:DWORD dst_unused:UNUSED_PAD src0_sel:BYTE_3 src1_sel:DWORD
	v_and_b32_e32 v32, 0x7f800000, v10
	v_mov_b32_e32 v33, v23
	v_and_b32_e32 v2, 0x7fffff, v10
	v_mov_b32_e32 v3, v23
	v_or_b32_e32 v24, 0x7e, v5
	v_cmp_ne_u64_e32 vcc, s[38:39], v[32:33]
	s_and_saveexec_b64 s[18:19], vcc
	s_xor_b64 s[46:47], exec, s[18:19]
	s_cbranch_execz .LBB4_689
; %bb.680:                              ;   in Loop: Header=BB4_475 Depth=2
	v_and_b32_e32 v32, 0x7fffffff, v10
	v_mov_b32_e32 v33, v23
	v_cmp_gt_u64_e32 vcc, s[40:41], v[32:33]
	s_and_saveexec_b64 s[48:49], vcc
	s_cbranch_execz .LBB4_688
; %bb.681:                              ;   in Loop: Header=BB4_475 Depth=2
	v_cmp_ne_u32_e32 vcc, 0, v10
	v_mov_b32_e32 v24, 0
	s_and_saveexec_b64 s[50:51], vcc
	s_cbranch_execz .LBB4_687
; %bb.682:                              ;   in Loop: Header=BB4_475 Depth=2
	v_bfe_u32 v10, v10, 23, 8
	v_sub_u32_e32 v31, 0x79, v10
	v_cmp_gt_u32_e32 vcc, s65, v10
	v_add_u32_e32 v24, 0xffffff81, v10
	v_cndmask_b32_e32 v31, 0, v31, vcc
	v_cmp_eq_u32_e32 vcc, 0, v10
	v_cndmask_b32_e32 v10, v24, v47, vcc
	v_cndmask_b32_e32 v24, v31, v30, vcc
	v_or_b32_e32 v32, 0x800000, v2
	v_add_u32_e32 v31, 20, v24
	v_cndmask_b32_e32 v2, v32, v2, vcc
	v_lshlrev_b64 v[32:33], v31, -1
	v_not_b32_e32 v31, v33
	v_not_b32_e32 v32, v32
	v_and_b32_e32 v33, 0, v31
	v_and_b32_e32 v32, v2, v32
	v_add_u32_e32 v31, 19, v24
	v_lshrrev_b64 v[2:3], v24, v[2:3]
	v_lshlrev_b64 v[48:49], v31, 1
	v_lshrrev_b32_e32 v31, 23, v2
	v_add3_u32 v31, v24, v10, v31
	v_bfe_u32 v10, v2, 20, 1
	v_add_u32_e32 v10, -1, v10
	v_cmp_eq_u64_e32 vcc, v[32:33], v[48:49]
	v_cndmask_b32_e32 v10, 0, v10, vcc
	v_add_u32_e32 v10, v10, v2
	v_and_b32_e32 v10, 0xfffff, v10
	v_add_co_u32_e32 v2, vcc, v10, v2
	v_add_u32_e32 v24, 6, v31
	v_addc_co_u32_e32 v3, vcc, 0, v3, vcc
	v_cmp_ne_u32_e32 vcc, 0, v24
                                        ; implicit-def: $vgpr10
	s_and_saveexec_b64 s[18:19], vcc
	s_xor_b64 s[18:19], exec, s[18:19]
; %bb.683:                              ;   in Loop: Header=BB4_475 Depth=2
	v_add_u32_e32 v10, 7, v31
	v_cmp_lt_u64_e32 vcc, s[42:43], v[2:3]
	v_cndmask_b32_e32 v10, v24, v10, vcc
	v_cndmask_b32_e64 v24, 0, 1, vcc
	v_lshrrev_b64 v[2:3], v24, v[2:3]
; %bb.684:                              ;   in Loop: Header=BB4_475 Depth=2
	s_andn2_saveexec_b64 s[18:19], s[18:19]
; %bb.685:                              ;   in Loop: Header=BB4_475 Depth=2
	v_bfe_u32 v10, v2, 23, 1
; %bb.686:                              ;   in Loop: Header=BB4_475 Depth=2
	s_or_b64 exec, exec, s[18:19]
	v_lshrrev_b64 v[2:3], 20, v[2:3]
	v_cmp_gt_i32_e32 vcc, 16, v10
	v_cndmask_b32_e32 v3, 0, v3, vcc
	v_cndmask_b32_e32 v2, 7, v2, vcc
	v_cmp_eq_u64_e64 s[18:19], 0, v[2:3]
	v_min_i32_e32 v3, 15, v10
	v_cmp_eq_u32_e32 vcc, 0, v10
	v_lshlrev_b32_e32 v3, 3, v3
	v_and_or_b32 v2, v2, 7, v3
	s_and_b64 s[18:19], vcc, s[18:19]
	v_cndmask_b32_e64 v2, v2, 0, s[18:19]
	v_or_b32_e32 v24, v2, v5
.LBB4_687:                              ;   in Loop: Header=BB4_475 Depth=2
	s_or_b64 exec, exec, s[50:51]
.LBB4_688:                              ;   in Loop: Header=BB4_475 Depth=2
	s_or_b64 exec, exec, s[48:49]
                                        ; implicit-def: $vgpr10
                                        ; implicit-def: $vgpr2_vgpr3
.LBB4_689:                              ;   in Loop: Header=BB4_475 Depth=2
	s_andn2_saveexec_b64 s[18:19], s[46:47]
; %bb.690:                              ;   in Loop: Header=BB4_475 Depth=2
	v_or_b32_sdwa v5, v10, s64 dst_sel:DWORD dst_unused:UNUSED_PAD src0_sel:BYTE_3 src1_sel:DWORD
	v_cmp_eq_u64_e32 vcc, 0, v[2:3]
	v_cndmask_b32_e32 v24, v5, v24, vcc
; %bb.691:                              ;   in Loop: Header=BB4_475 Depth=2
	s_or_b64 exec, exec, s[18:19]
	v_lshrrev_b16_e32 v10, 8, v4
	v_lshrrev_b16_e32 v2, 8, v22
	v_cmp_ne_u16_e32 vcc, 0, v10
                                        ; implicit-def: $vgpr32
	s_and_saveexec_b64 s[18:19], s[14:15]
	s_xor_b64 s[46:47], exec, s[18:19]
	s_cbranch_execz .LBB4_705
; %bb.692:                              ;   in Loop: Header=BB4_475 Depth=2
	v_mov_b32_e32 v5, 0
	v_mov_b32_e32 v3, 0
	s_and_saveexec_b64 s[48:49], vcc
	s_cbranch_execz .LBB4_698
; %bb.693:                              ;   in Loop: Header=BB4_475 Depth=2
	v_cmp_ne_u16_e64 s[18:19], s63, v10
	v_bfrev_b32_e32 v3, 1
	s_and_saveexec_b64 s[50:51], s[18:19]
	s_cbranch_execz .LBB4_697
; %bb.694:                              ;   in Loop: Header=BB4_475 Depth=2
	v_and_b32_e32 v31, 0x7f, v10
	v_cmp_ne_u32_e64 s[18:19], s64, v31
	v_mov_b32_e32 v3, 0x7f800001
	s_and_saveexec_b64 s[52:53], s[18:19]
	s_cbranch_execz .LBB4_696
; %bb.695:                              ;   in Loop: Header=BB4_475 Depth=2
	v_and_b32_e32 v3, 7, v10
	v_ffbh_u32_e32 v32, v3
	v_min_u32_e32 v37, 32, v32
	v_subrev_u32_e32 v32, 28, v37
	v_lshlrev_b64 v[32:33], v32, v[10:11]
	v_lshrrev_b32_e32 v36, 3, v31
	v_sub_u32_e32 v10, 29, v37
	v_and_b32_e32 v32, 7, v32
	v_cmp_gt_u32_e64 s[18:19], 8, v31
	v_cndmask_b32_e64 v10, v36, v10, s[18:19]
	v_cndmask_b32_e64 v3, v3, v32, s[18:19]
	v_lshlrev_b32_e32 v31, 16, v4
	v_lshlrev_b32_e32 v3, 20, v3
	v_and_b32_e32 v31, 0x80000000, v31
	v_lshl_add_u32 v10, v10, 23, v46
	v_or3_b32 v3, v31, v10, v3
.LBB4_696:                              ;   in Loop: Header=BB4_475 Depth=2
	s_or_b64 exec, exec, s[52:53]
.LBB4_697:                              ;   in Loop: Header=BB4_475 Depth=2
	s_or_b64 exec, exec, s[50:51]
.LBB4_698:                              ;   in Loop: Header=BB4_475 Depth=2
	s_or_b64 exec, exec, s[48:49]
	v_cmp_ne_u16_e64 s[18:19], 0, v2
	s_and_saveexec_b64 s[48:49], s[18:19]
	s_cbranch_execz .LBB4_704
; %bb.699:                              ;   in Loop: Header=BB4_475 Depth=2
	v_cmp_ne_u16_e64 s[18:19], s63, v2
	v_bfrev_b32_e32 v5, 1
	s_and_saveexec_b64 s[50:51], s[18:19]
	s_cbranch_execz .LBB4_703
; %bb.700:                              ;   in Loop: Header=BB4_475 Depth=2
	v_and_b32_e32 v10, 0x7f, v2
	v_cmp_ne_u32_e64 s[18:19], s64, v10
	v_mov_b32_e32 v5, 0x7f800001
	s_and_saveexec_b64 s[52:53], s[18:19]
	s_cbranch_execz .LBB4_702
; %bb.701:                              ;   in Loop: Header=BB4_475 Depth=2
	v_and_b32_e32 v5, 7, v2
	v_ffbh_u32_e32 v32, v5
	v_min_u32_e32 v36, 32, v32
	v_subrev_u32_e32 v32, 28, v36
	v_lshlrev_b64 v[32:33], v32, v[2:3]
	v_lshrrev_b32_e32 v31, 3, v10
	v_sub_u32_e32 v2, 29, v36
	v_and_b32_e32 v32, 7, v32
	v_cmp_gt_u32_e64 s[18:19], 8, v10
	v_cndmask_b32_e64 v2, v31, v2, s[18:19]
	v_cndmask_b32_e64 v5, v5, v32, s[18:19]
	v_lshlrev_b32_e32 v10, 16, v22
	v_lshlrev_b32_e32 v5, 20, v5
	v_and_b32_e32 v10, 0x80000000, v10
	v_lshl_add_u32 v2, v2, 23, v46
	v_or3_b32 v5, v10, v2, v5
.LBB4_702:                              ;   in Loop: Header=BB4_475 Depth=2
	s_or_b64 exec, exec, s[52:53]
.LBB4_703:                              ;   in Loop: Header=BB4_475 Depth=2
	s_or_b64 exec, exec, s[50:51]
.LBB4_704:                              ;   in Loop: Header=BB4_475 Depth=2
	s_or_b64 exec, exec, s[48:49]
	v_max_f32_e32 v2, v5, v5
	v_max_f32_e32 v3, v3, v3
	;; [unrolled: 1-line block ×3, first 2 shown]
                                        ; implicit-def: $vgpr2
                                        ; implicit-def: $vgpr10
.LBB4_705:                              ;   in Loop: Header=BB4_475 Depth=2
	s_andn2_saveexec_b64 s[18:19], s[46:47]
	s_cbranch_execz .LBB4_719
; %bb.706:                              ;   in Loop: Header=BB4_475 Depth=2
	v_mov_b32_e32 v5, 0
	v_mov_b32_e32 v3, 0
	s_and_saveexec_b64 s[46:47], vcc
	s_cbranch_execz .LBB4_712
; %bb.707:                              ;   in Loop: Header=BB4_475 Depth=2
	v_cmp_ne_u16_e32 vcc, s63, v10
	v_bfrev_b32_e32 v3, 1
	s_and_saveexec_b64 s[48:49], vcc
	s_cbranch_execz .LBB4_711
; %bb.708:                              ;   in Loop: Header=BB4_475 Depth=2
	v_and_b32_e32 v31, 0x7f, v10
	v_cmp_ne_u32_e32 vcc, s64, v31
	v_mov_b32_e32 v3, 0x7f800001
	s_and_saveexec_b64 s[50:51], vcc
	s_cbranch_execz .LBB4_710
; %bb.709:                              ;   in Loop: Header=BB4_475 Depth=2
	v_and_b32_e32 v3, 7, v10
	v_ffbh_u32_e32 v32, v3
	v_min_u32_e32 v37, 32, v32
	v_subrev_u32_e32 v32, 28, v37
	v_lshlrev_b64 v[32:33], v32, v[10:11]
	v_lshrrev_b32_e32 v36, 3, v31
	v_sub_u32_e32 v10, 29, v37
	v_and_b32_e32 v32, 7, v32
	v_cmp_gt_u32_e32 vcc, 8, v31
	v_cndmask_b32_e32 v10, v36, v10, vcc
	v_cndmask_b32_e32 v3, v3, v32, vcc
	v_lshlrev_b32_e32 v31, 16, v4
	v_lshlrev_b32_e32 v3, 20, v3
	v_and_b32_e32 v31, 0x80000000, v31
	v_lshl_add_u32 v10, v10, 23, v46
	v_or3_b32 v3, v31, v10, v3
.LBB4_710:                              ;   in Loop: Header=BB4_475 Depth=2
	s_or_b64 exec, exec, s[50:51]
.LBB4_711:                              ;   in Loop: Header=BB4_475 Depth=2
	s_or_b64 exec, exec, s[48:49]
.LBB4_712:                              ;   in Loop: Header=BB4_475 Depth=2
	s_or_b64 exec, exec, s[46:47]
	v_cmp_ne_u16_e32 vcc, 0, v2
	s_and_saveexec_b64 s[46:47], vcc
	s_cbranch_execz .LBB4_718
; %bb.713:                              ;   in Loop: Header=BB4_475 Depth=2
	v_cmp_ne_u16_e32 vcc, s63, v2
	v_bfrev_b32_e32 v5, 1
	s_and_saveexec_b64 s[48:49], vcc
	s_cbranch_execz .LBB4_717
; %bb.714:                              ;   in Loop: Header=BB4_475 Depth=2
	v_and_b32_e32 v10, 0x7f, v2
	v_cmp_ne_u32_e32 vcc, s64, v10
	v_mov_b32_e32 v5, 0x7f800001
	s_and_saveexec_b64 s[50:51], vcc
	s_cbranch_execz .LBB4_716
; %bb.715:                              ;   in Loop: Header=BB4_475 Depth=2
	v_and_b32_e32 v5, 7, v2
	v_ffbh_u32_e32 v32, v5
	v_min_u32_e32 v36, 32, v32
	v_subrev_u32_e32 v32, 28, v36
	v_lshlrev_b64 v[32:33], v32, v[2:3]
	v_lshrrev_b32_e32 v31, 3, v10
	v_sub_u32_e32 v2, 29, v36
	v_and_b32_e32 v32, 7, v32
	v_cmp_gt_u32_e32 vcc, 8, v10
	v_cndmask_b32_e32 v2, v31, v2, vcc
	v_cndmask_b32_e32 v5, v5, v32, vcc
	v_lshlrev_b32_e32 v10, 16, v22
	v_lshlrev_b32_e32 v5, 20, v5
	v_and_b32_e32 v10, 0x80000000, v10
	v_lshl_add_u32 v2, v2, 23, v46
	v_or3_b32 v5, v10, v2, v5
.LBB4_716:                              ;   in Loop: Header=BB4_475 Depth=2
	s_or_b64 exec, exec, s[50:51]
.LBB4_717:                              ;   in Loop: Header=BB4_475 Depth=2
	s_or_b64 exec, exec, s[48:49]
.LBB4_718:                              ;   in Loop: Header=BB4_475 Depth=2
	s_or_b64 exec, exec, s[46:47]
	v_max_f32_e32 v2, v5, v5
	v_max_f32_e32 v3, v3, v3
	v_min_f32_e32 v32, v3, v2
.LBB4_719:                              ;   in Loop: Header=BB4_475 Depth=2
	s_or_b64 exec, exec, s[18:19]
	v_and_b32_sdwa v5, v32, s63 dst_sel:DWORD dst_unused:UNUSED_PAD src0_sel:BYTE_3 src1_sel:DWORD
	v_and_b32_e32 v48, 0x7f800000, v32
	v_mov_b32_e32 v49, v23
	v_and_b32_e32 v2, 0x7fffff, v32
	v_mov_b32_e32 v3, v23
	v_or_b32_e32 v31, 0x7e, v5
	v_cmp_ne_u64_e32 vcc, s[38:39], v[48:49]
	s_and_saveexec_b64 s[18:19], vcc
	s_xor_b64 s[46:47], exec, s[18:19]
	s_cbranch_execz .LBB4_729
; %bb.720:                              ;   in Loop: Header=BB4_475 Depth=2
	v_and_b32_e32 v48, 0x7fffffff, v32
	v_mov_b32_e32 v49, v23
	v_cmp_gt_u64_e32 vcc, s[40:41], v[48:49]
	s_and_saveexec_b64 s[48:49], vcc
	s_cbranch_execz .LBB4_728
; %bb.721:                              ;   in Loop: Header=BB4_475 Depth=2
	v_cmp_ne_u32_e32 vcc, 0, v32
	v_mov_b32_e32 v31, 0
	s_and_saveexec_b64 s[50:51], vcc
	s_cbranch_execz .LBB4_727
; %bb.722:                              ;   in Loop: Header=BB4_475 Depth=2
	v_bfe_u32 v10, v32, 23, 8
	v_sub_u32_e32 v32, 0x79, v10
	v_cmp_gt_u32_e32 vcc, s65, v10
	v_add_u32_e32 v31, 0xffffff81, v10
	v_cndmask_b32_e32 v32, 0, v32, vcc
	v_cmp_eq_u32_e32 vcc, 0, v10
	v_cndmask_b32_e32 v10, v31, v47, vcc
	v_cndmask_b32_e32 v31, v32, v30, vcc
	v_or_b32_e32 v33, 0x800000, v2
	v_add_u32_e32 v32, 20, v31
	v_cndmask_b32_e32 v2, v33, v2, vcc
	v_lshlrev_b64 v[32:33], v32, -1
	v_not_b32_e32 v32, v32
	v_and_b32_e32 v48, v2, v32
	v_add_u32_e32 v32, 19, v31
	v_lshrrev_b64 v[2:3], v31, v[2:3]
	v_not_b32_e32 v33, v33
	v_lshlrev_b64 v[54:55], v32, 1
	v_lshrrev_b32_e32 v32, 23, v2
	v_and_b32_e32 v49, 0, v33
	v_add3_u32 v32, v31, v10, v32
	v_bfe_u32 v10, v2, 20, 1
	v_add_u32_e32 v10, -1, v10
	v_cmp_eq_u64_e32 vcc, v[48:49], v[54:55]
	v_cndmask_b32_e32 v10, 0, v10, vcc
	v_add_u32_e32 v10, v10, v2
	v_and_b32_e32 v10, 0xfffff, v10
	v_add_co_u32_e32 v2, vcc, v10, v2
	v_add_u32_e32 v31, 6, v32
	v_addc_co_u32_e32 v3, vcc, 0, v3, vcc
	v_cmp_ne_u32_e32 vcc, 0, v31
                                        ; implicit-def: $vgpr10
	s_and_saveexec_b64 s[18:19], vcc
	s_xor_b64 s[18:19], exec, s[18:19]
; %bb.723:                              ;   in Loop: Header=BB4_475 Depth=2
	v_add_u32_e32 v10, 7, v32
	v_cmp_lt_u64_e32 vcc, s[42:43], v[2:3]
	v_cndmask_b32_e32 v10, v31, v10, vcc
	v_cndmask_b32_e64 v31, 0, 1, vcc
	v_lshrrev_b64 v[2:3], v31, v[2:3]
; %bb.724:                              ;   in Loop: Header=BB4_475 Depth=2
	s_andn2_saveexec_b64 s[18:19], s[18:19]
; %bb.725:                              ;   in Loop: Header=BB4_475 Depth=2
	v_bfe_u32 v10, v2, 23, 1
; %bb.726:                              ;   in Loop: Header=BB4_475 Depth=2
	s_or_b64 exec, exec, s[18:19]
	v_lshrrev_b64 v[2:3], 20, v[2:3]
	v_cmp_gt_i32_e32 vcc, 16, v10
	v_cndmask_b32_e32 v3, 0, v3, vcc
	v_cndmask_b32_e32 v2, 7, v2, vcc
	v_cmp_eq_u64_e64 s[18:19], 0, v[2:3]
	v_min_i32_e32 v3, 15, v10
	v_cmp_eq_u32_e32 vcc, 0, v10
	v_lshlrev_b32_e32 v3, 3, v3
	v_and_or_b32 v2, v2, 7, v3
	s_and_b64 s[18:19], vcc, s[18:19]
	v_cndmask_b32_e64 v2, v2, 0, s[18:19]
	v_accvgpr_read_b32 v55, a9
	v_or_b32_e32 v31, v2, v5
	v_accvgpr_read_b32 v54, a8
.LBB4_727:                              ;   in Loop: Header=BB4_475 Depth=2
	s_or_b64 exec, exec, s[50:51]
.LBB4_728:                              ;   in Loop: Header=BB4_475 Depth=2
	s_or_b64 exec, exec, s[48:49]
                                        ; implicit-def: $vgpr32
                                        ; implicit-def: $vgpr2_vgpr3
.LBB4_729:                              ;   in Loop: Header=BB4_475 Depth=2
	s_andn2_saveexec_b64 s[18:19], s[46:47]
; %bb.730:                              ;   in Loop: Header=BB4_475 Depth=2
	v_or_b32_sdwa v5, v32, s64 dst_sel:DWORD dst_unused:UNUSED_PAD src0_sel:BYTE_3 src1_sel:DWORD
	v_cmp_eq_u64_e32 vcc, 0, v[2:3]
	v_cndmask_b32_e32 v31, v5, v31, vcc
; %bb.731:                              ;   in Loop: Header=BB4_475 Depth=2
	s_or_b64 exec, exec, s[18:19]
	v_lshrrev_b32_e32 v10, 16, v4
	v_lshrrev_b32_e32 v2, 16, v22
	v_cmp_ne_u16_sdwa s[18:19], v10, v23 src0_sel:BYTE_0 src1_sel:DWORD
                                        ; implicit-def: $vgpr33
	s_and_saveexec_b64 vcc, s[14:15]
	s_xor_b64 s[46:47], exec, vcc
	s_cbranch_execz .LBB4_745
; %bb.732:                              ;   in Loop: Header=BB4_475 Depth=2
	v_mov_b32_e32 v5, 0
	v_mov_b32_e32 v3, 0
	s_and_saveexec_b64 s[48:49], s[18:19]
	s_cbranch_execz .LBB4_738
; %bb.733:                              ;   in Loop: Header=BB4_475 Depth=2
	v_cmp_ne_u16_sdwa vcc, v10, s63 src0_sel:BYTE_0 src1_sel:DWORD
	v_bfrev_b32_e32 v3, 1
	s_and_saveexec_b64 s[50:51], vcc
	s_cbranch_execz .LBB4_737
; %bb.734:                              ;   in Loop: Header=BB4_475 Depth=2
	v_bfe_u32 v32, v4, 16, 7
	v_cmp_ne_u32_e32 vcc, s64, v32
	v_mov_b32_e32 v3, 0x7f800001
	s_and_saveexec_b64 s[52:53], vcc
	s_cbranch_execz .LBB4_736
; %bb.735:                              ;   in Loop: Header=BB4_475 Depth=2
	v_and_b32_e32 v3, 7, v10
	v_ffbh_u32_e32 v36, v3
	v_min_u32_e32 v36, 32, v36
	v_subrev_u32_e32 v37, 28, v36
	v_lshlrev_b64 v[48:49], v37, v[10:11]
	v_lshrrev_b32_e32 v33, 3, v32
	v_sub_u32_e32 v36, 29, v36
	v_and_b32_e32 v37, 7, v48
	v_cmp_gt_u32_e32 vcc, 8, v32
	v_cndmask_b32_e32 v32, v33, v36, vcc
	v_cndmask_b32_e32 v3, v3, v37, vcc
	v_lshlrev_b32_e32 v10, 24, v10
	v_lshlrev_b32_e32 v3, 20, v3
	v_and_b32_e32 v10, 0x80000000, v10
	v_lshl_add_u32 v32, v32, 23, v46
	v_or3_b32 v3, v10, v32, v3
.LBB4_736:                              ;   in Loop: Header=BB4_475 Depth=2
	s_or_b64 exec, exec, s[52:53]
.LBB4_737:                              ;   in Loop: Header=BB4_475 Depth=2
	s_or_b64 exec, exec, s[50:51]
.LBB4_738:                              ;   in Loop: Header=BB4_475 Depth=2
	s_or_b64 exec, exec, s[48:49]
	v_and_b32_sdwa v10, v22, s62 dst_sel:DWORD dst_unused:UNUSED_PAD src0_sel:WORD_1 src1_sel:DWORD
	v_cmp_ne_u16_e32 vcc, 0, v10
	s_and_saveexec_b64 s[48:49], vcc
	s_cbranch_execz .LBB4_744
; %bb.739:                              ;   in Loop: Header=BB4_475 Depth=2
	v_cmp_ne_u16_e32 vcc, s63, v10
	v_bfrev_b32_e32 v5, 1
	s_and_saveexec_b64 s[50:51], vcc
	s_cbranch_execz .LBB4_743
; %bb.740:                              ;   in Loop: Header=BB4_475 Depth=2
	v_bfe_u32 v10, v22, 16, 7
	v_cmp_ne_u32_e32 vcc, s64, v10
	v_mov_b32_e32 v5, 0x7f800001
	s_and_saveexec_b64 s[52:53], vcc
	s_cbranch_execz .LBB4_742
; %bb.741:                              ;   in Loop: Header=BB4_475 Depth=2
	v_and_b32_e32 v5, 7, v2
	v_ffbh_u32_e32 v32, v5
	v_min_u32_e32 v37, 32, v32
	v_subrev_u32_e32 v32, 28, v37
	v_lshlrev_b64 v[32:33], v32, v[2:3]
	v_lshrrev_b32_e32 v36, 3, v10
	v_sub_u32_e32 v2, 29, v37
	v_and_b32_e32 v32, 7, v32
	v_cmp_gt_u32_e32 vcc, 8, v10
	v_cndmask_b32_e32 v2, v36, v2, vcc
	v_cndmask_b32_e32 v5, v5, v32, vcc
	v_lshlrev_b32_sdwa v10, v6, v22 dst_sel:DWORD dst_unused:UNUSED_PAD src0_sel:DWORD src1_sel:WORD_1
	v_lshlrev_b32_e32 v5, 20, v5
	v_and_b32_e32 v10, 0x80000000, v10
	v_lshl_add_u32 v2, v2, 23, v46
	v_or3_b32 v5, v10, v2, v5
.LBB4_742:                              ;   in Loop: Header=BB4_475 Depth=2
	s_or_b64 exec, exec, s[52:53]
.LBB4_743:                              ;   in Loop: Header=BB4_475 Depth=2
	s_or_b64 exec, exec, s[50:51]
.LBB4_744:                              ;   in Loop: Header=BB4_475 Depth=2
	s_or_b64 exec, exec, s[48:49]
	v_max_f32_e32 v2, v5, v5
	v_max_f32_e32 v3, v3, v3
	;; [unrolled: 1-line block ×3, first 2 shown]
                                        ; implicit-def: $vgpr10
                                        ; implicit-def: $vgpr2
.LBB4_745:                              ;   in Loop: Header=BB4_475 Depth=2
	s_andn2_saveexec_b64 s[46:47], s[46:47]
	s_cbranch_execz .LBB4_759
; %bb.746:                              ;   in Loop: Header=BB4_475 Depth=2
	v_mov_b32_e32 v5, 0
	v_mov_b32_e32 v3, 0
	s_and_saveexec_b64 s[48:49], s[18:19]
	s_cbranch_execz .LBB4_752
; %bb.747:                              ;   in Loop: Header=BB4_475 Depth=2
	v_cmp_ne_u16_sdwa vcc, v10, s63 src0_sel:BYTE_0 src1_sel:DWORD
	v_bfrev_b32_e32 v3, 1
	s_and_saveexec_b64 s[18:19], vcc
	s_cbranch_execz .LBB4_751
; %bb.748:                              ;   in Loop: Header=BB4_475 Depth=2
	v_bfe_u32 v32, v4, 16, 7
	v_cmp_ne_u32_e32 vcc, s64, v32
	v_mov_b32_e32 v3, 0x7f800001
	s_and_saveexec_b64 s[50:51], vcc
	s_cbranch_execz .LBB4_750
; %bb.749:                              ;   in Loop: Header=BB4_475 Depth=2
	v_and_b32_e32 v3, 7, v10
	v_ffbh_u32_e32 v36, v3
	v_min_u32_e32 v36, 32, v36
	v_subrev_u32_e32 v37, 28, v36
	v_lshlrev_b64 v[48:49], v37, v[10:11]
	v_lshrrev_b32_e32 v33, 3, v32
	v_sub_u32_e32 v36, 29, v36
	v_and_b32_e32 v37, 7, v48
	v_cmp_gt_u32_e32 vcc, 8, v32
	v_cndmask_b32_e32 v32, v33, v36, vcc
	v_cndmask_b32_e32 v3, v3, v37, vcc
	v_lshlrev_b32_e32 v10, 24, v10
	v_lshlrev_b32_e32 v3, 20, v3
	v_and_b32_e32 v10, 0x80000000, v10
	v_lshl_add_u32 v32, v32, 23, v46
	v_or3_b32 v3, v10, v32, v3
.LBB4_750:                              ;   in Loop: Header=BB4_475 Depth=2
	s_or_b64 exec, exec, s[50:51]
.LBB4_751:                              ;   in Loop: Header=BB4_475 Depth=2
	s_or_b64 exec, exec, s[18:19]
.LBB4_752:                              ;   in Loop: Header=BB4_475 Depth=2
	s_or_b64 exec, exec, s[48:49]
	v_and_b32_sdwa v10, v22, s62 dst_sel:DWORD dst_unused:UNUSED_PAD src0_sel:WORD_1 src1_sel:DWORD
	v_cmp_ne_u16_e32 vcc, 0, v10
	s_and_saveexec_b64 s[18:19], vcc
	s_cbranch_execz .LBB4_758
; %bb.753:                              ;   in Loop: Header=BB4_475 Depth=2
	v_cmp_ne_u16_e32 vcc, s63, v10
	v_bfrev_b32_e32 v5, 1
	s_and_saveexec_b64 s[48:49], vcc
	s_cbranch_execz .LBB4_757
; %bb.754:                              ;   in Loop: Header=BB4_475 Depth=2
	v_bfe_u32 v10, v22, 16, 7
	v_cmp_ne_u32_e32 vcc, s64, v10
	v_mov_b32_e32 v5, 0x7f800001
	s_and_saveexec_b64 s[50:51], vcc
	s_cbranch_execz .LBB4_756
; %bb.755:                              ;   in Loop: Header=BB4_475 Depth=2
	v_and_b32_e32 v5, 7, v2
	v_ffbh_u32_e32 v32, v5
	v_min_u32_e32 v37, 32, v32
	v_subrev_u32_e32 v32, 28, v37
	v_lshlrev_b64 v[32:33], v32, v[2:3]
	v_lshrrev_b32_e32 v36, 3, v10
	v_sub_u32_e32 v2, 29, v37
	v_and_b32_e32 v32, 7, v32
	v_cmp_gt_u32_e32 vcc, 8, v10
	v_cndmask_b32_e32 v2, v36, v2, vcc
	v_cndmask_b32_e32 v5, v5, v32, vcc
	v_lshlrev_b32_sdwa v10, v6, v22 dst_sel:DWORD dst_unused:UNUSED_PAD src0_sel:DWORD src1_sel:WORD_1
	v_lshlrev_b32_e32 v5, 20, v5
	v_and_b32_e32 v10, 0x80000000, v10
	v_lshl_add_u32 v2, v2, 23, v46
	v_or3_b32 v5, v10, v2, v5
.LBB4_756:                              ;   in Loop: Header=BB4_475 Depth=2
	s_or_b64 exec, exec, s[50:51]
.LBB4_757:                              ;   in Loop: Header=BB4_475 Depth=2
	s_or_b64 exec, exec, s[48:49]
.LBB4_758:                              ;   in Loop: Header=BB4_475 Depth=2
	s_or_b64 exec, exec, s[18:19]
	v_max_f32_e32 v2, v5, v5
	v_max_f32_e32 v3, v3, v3
	v_min_f32_e32 v33, v3, v2
.LBB4_759:                              ;   in Loop: Header=BB4_475 Depth=2
	s_or_b64 exec, exec, s[46:47]
	v_and_b32_sdwa v5, v33, s63 dst_sel:DWORD dst_unused:UNUSED_PAD src0_sel:BYTE_3 src1_sel:DWORD
	v_and_b32_e32 v48, 0x7f800000, v33
	v_mov_b32_e32 v49, v23
	v_and_b32_e32 v2, 0x7fffff, v33
	v_mov_b32_e32 v3, v23
	v_or_b32_e32 v32, 0x7e, v5
	v_cmp_ne_u64_e32 vcc, s[38:39], v[48:49]
	s_and_saveexec_b64 s[18:19], vcc
	s_xor_b64 s[46:47], exec, s[18:19]
	s_cbranch_execz .LBB4_769
; %bb.760:                              ;   in Loop: Header=BB4_475 Depth=2
	v_and_b32_e32 v48, 0x7fffffff, v33
	v_mov_b32_e32 v49, v23
	v_cmp_gt_u64_e32 vcc, s[40:41], v[48:49]
	s_and_saveexec_b64 s[48:49], vcc
	s_cbranch_execz .LBB4_768
; %bb.761:                              ;   in Loop: Header=BB4_475 Depth=2
	v_cmp_ne_u32_e32 vcc, 0, v33
	v_mov_b32_e32 v32, 0
	s_and_saveexec_b64 s[50:51], vcc
	s_cbranch_execz .LBB4_767
; %bb.762:                              ;   in Loop: Header=BB4_475 Depth=2
	v_bfe_u32 v10, v33, 23, 8
	v_sub_u32_e32 v33, 0x79, v10
	v_cmp_gt_u32_e32 vcc, s65, v10
	v_cndmask_b32_e32 v33, 0, v33, vcc
	v_cmp_eq_u32_e32 vcc, 0, v10
	v_add_u32_e32 v32, 0xffffff81, v10
	v_cndmask_b32_e32 v37, v33, v30, vcc
	v_cndmask_b32_e32 v10, v32, v47, vcc
	v_add_u32_e32 v32, 20, v37
	v_or_b32_e32 v36, 0x800000, v2
	v_lshlrev_b64 v[32:33], v32, -1
	v_cndmask_b32_e32 v2, v36, v2, vcc
	v_not_b32_e32 v32, v32
	v_and_b32_e32 v48, v2, v32
	v_add_u32_e32 v32, 19, v37
	v_lshrrev_b64 v[2:3], v37, v[2:3]
	v_not_b32_e32 v33, v33
	v_lshlrev_b64 v[54:55], v32, 1
	v_lshrrev_b32_e32 v32, 23, v2
	v_and_b32_e32 v49, 0, v33
	v_add3_u32 v33, v37, v10, v32
	v_bfe_u32 v10, v2, 20, 1
	v_add_u32_e32 v10, -1, v10
	v_cmp_eq_u64_e32 vcc, v[48:49], v[54:55]
	v_cndmask_b32_e32 v10, 0, v10, vcc
	v_add_u32_e32 v10, v10, v2
	v_and_b32_e32 v10, 0xfffff, v10
	v_add_co_u32_e32 v2, vcc, v10, v2
	v_add_u32_e32 v32, 6, v33
	v_addc_co_u32_e32 v3, vcc, 0, v3, vcc
	v_cmp_ne_u32_e32 vcc, 0, v32
                                        ; implicit-def: $vgpr10
	s_and_saveexec_b64 s[18:19], vcc
	s_xor_b64 s[18:19], exec, s[18:19]
; %bb.763:                              ;   in Loop: Header=BB4_475 Depth=2
	v_add_u32_e32 v10, 7, v33
	v_cmp_lt_u64_e32 vcc, s[42:43], v[2:3]
	v_cndmask_b32_e32 v10, v32, v10, vcc
	v_cndmask_b32_e64 v32, 0, 1, vcc
	v_lshrrev_b64 v[2:3], v32, v[2:3]
; %bb.764:                              ;   in Loop: Header=BB4_475 Depth=2
	s_andn2_saveexec_b64 s[18:19], s[18:19]
; %bb.765:                              ;   in Loop: Header=BB4_475 Depth=2
	v_bfe_u32 v10, v2, 23, 1
; %bb.766:                              ;   in Loop: Header=BB4_475 Depth=2
	s_or_b64 exec, exec, s[18:19]
	v_lshrrev_b64 v[2:3], 20, v[2:3]
	v_cmp_gt_i32_e32 vcc, 16, v10
	v_cndmask_b32_e32 v3, 0, v3, vcc
	v_cndmask_b32_e32 v2, 7, v2, vcc
	v_cmp_eq_u64_e64 s[18:19], 0, v[2:3]
	v_min_i32_e32 v3, 15, v10
	v_lshlrev_b32_e32 v3, 3, v3
	v_cmp_eq_u32_e32 vcc, 0, v10
	v_and_b32_e32 v3, 0xf8, v3
	v_and_or_b32 v2, v2, 7, v3
	s_and_b64 s[18:19], vcc, s[18:19]
	v_cndmask_b32_e64 v2, v2, 0, s[18:19]
	v_accvgpr_read_b32 v55, a9
	v_or_b32_e32 v32, v2, v5
	v_accvgpr_read_b32 v54, a8
.LBB4_767:                              ;   in Loop: Header=BB4_475 Depth=2
	s_or_b64 exec, exec, s[50:51]
.LBB4_768:                              ;   in Loop: Header=BB4_475 Depth=2
	s_or_b64 exec, exec, s[48:49]
                                        ; implicit-def: $vgpr33
                                        ; implicit-def: $vgpr2_vgpr3
.LBB4_769:                              ;   in Loop: Header=BB4_475 Depth=2
	s_andn2_saveexec_b64 s[18:19], s[46:47]
; %bb.770:                              ;   in Loop: Header=BB4_475 Depth=2
	v_or_b32_sdwa v5, v33, s64 dst_sel:DWORD dst_unused:UNUSED_PAD src0_sel:BYTE_3 src1_sel:DWORD
	v_cmp_eq_u64_e32 vcc, 0, v[2:3]
	v_cndmask_b32_e32 v32, v5, v32, vcc
; %bb.771:                              ;   in Loop: Header=BB4_475 Depth=2
	s_or_b64 exec, exec, s[18:19]
	v_and_b32_e32 v48, 0xff000000, v4
	v_mov_b32_e32 v49, v23
	v_lshrrev_b32_e32 v10, 24, v4
	v_lshrrev_b32_e32 v2, 24, v22
	v_cmp_ne_u64_e32 vcc, 0, v[48:49]
                                        ; implicit-def: $vgpr3
	s_and_saveexec_b64 s[18:19], s[14:15]
	s_xor_b64 s[46:47], exec, s[18:19]
	s_cbranch_execz .LBB4_785
; %bb.772:                              ;   in Loop: Header=BB4_475 Depth=2
	v_mov_b32_e32 v5, 0
	v_mov_b32_e32 v3, 0
	s_and_saveexec_b64 s[48:49], vcc
	s_cbranch_execz .LBB4_778
; %bb.773:                              ;   in Loop: Header=BB4_475 Depth=2
	v_cmp_ne_u32_e64 s[18:19], s63, v10
	v_bfrev_b32_e32 v3, 1
	s_and_saveexec_b64 s[50:51], s[18:19]
	s_cbranch_execz .LBB4_777
; %bb.774:                              ;   in Loop: Header=BB4_475 Depth=2
	v_bfe_u32 v4, v4, 24, 7
	v_cmp_ne_u32_e64 s[18:19], s64, v4
	v_mov_b32_e32 v3, 0x7f800001
	s_and_saveexec_b64 s[52:53], s[18:19]
	s_cbranch_execz .LBB4_776
; %bb.775:                              ;   in Loop: Header=BB4_475 Depth=2
	v_and_b32_e32 v3, 7, v10
	v_ffbh_u32_e32 v36, v3
	v_min_u32_e32 v36, 32, v36
	v_subrev_u32_e32 v37, 28, v36
	v_lshlrev_b64 v[48:49], v37, v[10:11]
	v_lshrrev_b32_e32 v33, 3, v4
	v_sub_u32_e32 v36, 29, v36
	v_and_b32_e32 v37, 7, v48
	v_cmp_gt_u32_e64 s[18:19], 8, v4
	v_cndmask_b32_e64 v4, v33, v36, s[18:19]
	v_cndmask_b32_e64 v3, v3, v37, s[18:19]
	v_lshlrev_b32_e32 v10, 24, v10
	v_lshlrev_b32_e32 v3, 20, v3
	v_and_b32_e32 v10, 0x80000000, v10
	v_lshl_add_u32 v4, v4, 23, v46
	v_or3_b32 v3, v10, v4, v3
.LBB4_776:                              ;   in Loop: Header=BB4_475 Depth=2
	s_or_b64 exec, exec, s[52:53]
.LBB4_777:                              ;   in Loop: Header=BB4_475 Depth=2
	s_or_b64 exec, exec, s[50:51]
.LBB4_778:                              ;   in Loop: Header=BB4_475 Depth=2
	s_or_b64 exec, exec, s[48:49]
	v_cmp_lt_u32_e64 s[18:19], s66, v22
	s_and_saveexec_b64 s[48:49], s[18:19]
	s_cbranch_execz .LBB4_784
; %bb.779:                              ;   in Loop: Header=BB4_475 Depth=2
	v_cmp_ne_u32_sdwa s[18:19], v22, s63 src0_sel:BYTE_3 src1_sel:DWORD
	v_bfrev_b32_e32 v5, 1
	s_and_saveexec_b64 s[50:51], s[18:19]
	s_cbranch_execz .LBB4_783
; %bb.780:                              ;   in Loop: Header=BB4_475 Depth=2
	v_bfe_u32 v4, v22, 24, 7
	v_cmp_ne_u32_e64 s[18:19], s64, v4
	v_mov_b32_e32 v5, 0x7f800001
	s_and_saveexec_b64 s[52:53], s[18:19]
	s_cbranch_execz .LBB4_782
; %bb.781:                              ;   in Loop: Header=BB4_475 Depth=2
	v_and_b32_e32 v5, 7, v2
	v_ffbh_u32_e32 v33, v5
	v_min_u32_e32 v33, 32, v33
	v_subrev_u32_e32 v36, 28, v33
	v_lshlrev_b64 v[48:49], v36, v[2:3]
	v_lshrrev_b32_e32 v10, 3, v4
	v_sub_u32_e32 v2, 29, v33
	v_and_b32_e32 v33, 7, v48
	v_cmp_gt_u32_e64 s[18:19], 8, v4
	v_cndmask_b32_e64 v2, v10, v2, s[18:19]
	v_cndmask_b32_e64 v4, v5, v33, s[18:19]
	v_lshlrev_b32_sdwa v5, v6, v22 dst_sel:DWORD dst_unused:UNUSED_PAD src0_sel:DWORD src1_sel:BYTE_3
	v_lshlrev_b32_e32 v4, 20, v4
	v_and_b32_e32 v5, 0x80000000, v5
	v_lshl_add_u32 v2, v2, 23, v46
	v_or3_b32 v5, v5, v2, v4
.LBB4_782:                              ;   in Loop: Header=BB4_475 Depth=2
	s_or_b64 exec, exec, s[52:53]
.LBB4_783:                              ;   in Loop: Header=BB4_475 Depth=2
	s_or_b64 exec, exec, s[50:51]
.LBB4_784:                              ;   in Loop: Header=BB4_475 Depth=2
	s_or_b64 exec, exec, s[48:49]
	v_max_f32_e32 v2, v5, v5
	v_max_f32_e32 v3, v3, v3
	v_max_f32_e32 v3, v3, v2
                                        ; implicit-def: $vgpr10
                                        ; implicit-def: $vgpr2
                                        ; implicit-def: $vgpr4_vgpr5
.LBB4_785:                              ;   in Loop: Header=BB4_475 Depth=2
	s_andn2_saveexec_b64 s[18:19], s[46:47]
	s_cbranch_execz .LBB4_799
; %bb.786:                              ;   in Loop: Header=BB4_475 Depth=2
	v_mov_b32_e32 v5, 0
	v_mov_b32_e32 v3, 0
	s_and_saveexec_b64 s[46:47], vcc
	s_cbranch_execz .LBB4_792
; %bb.787:                              ;   in Loop: Header=BB4_475 Depth=2
	v_cmp_ne_u32_e32 vcc, s63, v10
	v_bfrev_b32_e32 v3, 1
	s_and_saveexec_b64 s[48:49], vcc
	s_cbranch_execz .LBB4_791
; %bb.788:                              ;   in Loop: Header=BB4_475 Depth=2
	v_bfe_u32 v4, v4, 24, 7
	v_cmp_ne_u32_e32 vcc, s64, v4
	v_mov_b32_e32 v3, 0x7f800001
	s_and_saveexec_b64 s[50:51], vcc
	s_cbranch_execz .LBB4_790
; %bb.789:                              ;   in Loop: Header=BB4_475 Depth=2
	v_and_b32_e32 v3, 7, v10
	v_ffbh_u32_e32 v36, v3
	v_min_u32_e32 v36, 32, v36
	v_subrev_u32_e32 v37, 28, v36
	v_lshlrev_b64 v[48:49], v37, v[10:11]
	v_lshrrev_b32_e32 v33, 3, v4
	v_sub_u32_e32 v36, 29, v36
	v_and_b32_e32 v37, 7, v48
	v_cmp_gt_u32_e32 vcc, 8, v4
	v_cndmask_b32_e32 v4, v33, v36, vcc
	v_cndmask_b32_e32 v3, v3, v37, vcc
	v_lshlrev_b32_e32 v10, 24, v10
	v_lshlrev_b32_e32 v3, 20, v3
	v_and_b32_e32 v10, 0x80000000, v10
	v_lshl_add_u32 v4, v4, 23, v46
	v_or3_b32 v3, v10, v4, v3
.LBB4_790:                              ;   in Loop: Header=BB4_475 Depth=2
	s_or_b64 exec, exec, s[50:51]
.LBB4_791:                              ;   in Loop: Header=BB4_475 Depth=2
	s_or_b64 exec, exec, s[48:49]
.LBB4_792:                              ;   in Loop: Header=BB4_475 Depth=2
	s_or_b64 exec, exec, s[46:47]
	v_cmp_lt_u32_e32 vcc, s66, v22
	s_and_saveexec_b64 s[46:47], vcc
	s_cbranch_execz .LBB4_798
; %bb.793:                              ;   in Loop: Header=BB4_475 Depth=2
	v_cmp_ne_u32_sdwa vcc, v22, s63 src0_sel:BYTE_3 src1_sel:DWORD
	v_bfrev_b32_e32 v5, 1
	s_and_saveexec_b64 s[48:49], vcc
	s_cbranch_execz .LBB4_797
; %bb.794:                              ;   in Loop: Header=BB4_475 Depth=2
	v_bfe_u32 v4, v22, 24, 7
	v_cmp_ne_u32_e32 vcc, s64, v4
	v_mov_b32_e32 v5, 0x7f800001
	s_and_saveexec_b64 s[50:51], vcc
	s_cbranch_execz .LBB4_796
; %bb.795:                              ;   in Loop: Header=BB4_475 Depth=2
	v_and_b32_e32 v5, 7, v2
	v_ffbh_u32_e32 v33, v5
	v_min_u32_e32 v33, 32, v33
	v_subrev_u32_e32 v36, 28, v33
	v_lshlrev_b64 v[48:49], v36, v[2:3]
	v_lshrrev_b32_e32 v10, 3, v4
	v_sub_u32_e32 v2, 29, v33
	v_and_b32_e32 v33, 7, v48
	v_cmp_gt_u32_e32 vcc, 8, v4
	v_cndmask_b32_e32 v2, v10, v2, vcc
	v_cndmask_b32_e32 v4, v5, v33, vcc
	v_lshlrev_b32_sdwa v5, v6, v22 dst_sel:DWORD dst_unused:UNUSED_PAD src0_sel:DWORD src1_sel:BYTE_3
	v_lshlrev_b32_e32 v4, 20, v4
	v_and_b32_e32 v5, 0x80000000, v5
	v_lshl_add_u32 v2, v2, 23, v46
	v_or3_b32 v5, v5, v2, v4
.LBB4_796:                              ;   in Loop: Header=BB4_475 Depth=2
	s_or_b64 exec, exec, s[50:51]
.LBB4_797:                              ;   in Loop: Header=BB4_475 Depth=2
	s_or_b64 exec, exec, s[48:49]
.LBB4_798:                              ;   in Loop: Header=BB4_475 Depth=2
	s_or_b64 exec, exec, s[46:47]
	v_max_f32_e32 v2, v5, v5
	v_max_f32_e32 v3, v3, v3
	v_min_f32_e32 v3, v3, v2
.LBB4_799:                              ;   in Loop: Header=BB4_475 Depth=2
	s_or_b64 exec, exec, s[18:19]
	v_and_b32_sdwa v4, v3, s63 dst_sel:DWORD dst_unused:UNUSED_PAD src0_sel:BYTE_3 src1_sel:DWORD
	v_and_b32_e32 v48, 0x7f800000, v3
	v_mov_b32_e32 v49, v23
	v_and_b32_e32 v22, 0x7fffff, v3
	v_or_b32_e32 v2, 0x7e, v4
	v_cmp_ne_u64_e32 vcc, s[38:39], v[48:49]
	s_and_saveexec_b64 s[18:19], vcc
	s_xor_b64 s[46:47], exec, s[18:19]
	s_cbranch_execz .LBB4_809
; %bb.800:                              ;   in Loop: Header=BB4_475 Depth=2
	v_and_b32_e32 v48, 0x7fffffff, v3
	v_mov_b32_e32 v49, v23
	v_cmp_gt_u64_e32 vcc, s[40:41], v[48:49]
	s_and_saveexec_b64 s[48:49], vcc
	s_cbranch_execz .LBB4_808
; %bb.801:                              ;   in Loop: Header=BB4_475 Depth=2
	v_cmp_ne_u32_e32 vcc, 0, v3
	v_mov_b32_e32 v2, 0
	s_and_saveexec_b64 s[50:51], vcc
	s_cbranch_execz .LBB4_807
; %bb.802:                              ;   in Loop: Header=BB4_475 Depth=2
	v_bfe_u32 v2, v3, 23, 8
	v_sub_u32_e32 v5, 0x79, v2
	v_cmp_gt_u32_e32 vcc, s65, v2
	v_cndmask_b32_e32 v5, 0, v5, vcc
	v_cmp_eq_u32_e32 vcc, 0, v2
	v_or_b32_e32 v10, 0x800000, v22
	v_cndmask_b32_e32 v5, v5, v30, vcc
	v_add_u32_e32 v3, 0xffffff81, v2
	v_cndmask_b32_e32 v22, v10, v22, vcc
	v_add_u32_e32 v2, 20, v5
	v_cndmask_b32_e32 v33, v3, v47, vcc
	v_lshlrev_b64 v[2:3], v2, -1
	v_add_u32_e32 v10, 19, v5
	v_lshrrev_b64 v[54:55], v5, v[22:23]
	v_not_b32_e32 v3, v3
	v_not_b32_e32 v2, v2
	v_lshlrev_b64 v[48:49], v10, 1
	v_lshrrev_b32_e32 v10, 23, v54
	v_and_b32_e32 v3, 0, v3
	v_and_b32_e32 v2, v22, v2
	v_add3_u32 v33, v5, v33, v10
	v_bfe_u32 v5, v54, 20, 1
	v_add_u32_e32 v5, -1, v5
	v_cmp_eq_u64_e32 vcc, v[2:3], v[48:49]
	v_cndmask_b32_e32 v2, 0, v5, vcc
	v_add_u32_e32 v2, v2, v54
	v_and_b32_e32 v2, 0xfffff, v2
	v_add_co_u32_e32 v2, vcc, v2, v54
	v_add_u32_e32 v10, 6, v33
	v_addc_co_u32_e32 v3, vcc, 0, v55, vcc
	v_cmp_ne_u32_e32 vcc, 0, v10
                                        ; implicit-def: $vgpr5
	s_and_saveexec_b64 s[18:19], vcc
	s_xor_b64 s[18:19], exec, s[18:19]
; %bb.803:                              ;   in Loop: Header=BB4_475 Depth=2
	v_add_u32_e32 v5, 7, v33
	v_cmp_lt_u64_e32 vcc, s[42:43], v[2:3]
	v_cndmask_b32_e32 v5, v10, v5, vcc
	v_cndmask_b32_e64 v10, 0, 1, vcc
	v_lshrrev_b64 v[2:3], v10, v[2:3]
; %bb.804:                              ;   in Loop: Header=BB4_475 Depth=2
	s_andn2_saveexec_b64 s[18:19], s[18:19]
; %bb.805:                              ;   in Loop: Header=BB4_475 Depth=2
	v_bfe_u32 v5, v2, 23, 1
; %bb.806:                              ;   in Loop: Header=BB4_475 Depth=2
	s_or_b64 exec, exec, s[18:19]
	v_lshrrev_b64 v[2:3], 20, v[2:3]
	v_cmp_gt_i32_e32 vcc, 16, v5
	v_cndmask_b32_e32 v3, 0, v3, vcc
	v_cndmask_b32_e32 v2, 7, v2, vcc
	v_cmp_eq_u64_e64 s[18:19], 0, v[2:3]
	v_min_i32_e32 v3, 15, v5
	v_lshlrev_b32_e32 v3, 3, v3
	v_cmp_eq_u32_e32 vcc, 0, v5
	v_and_b32_e32 v3, 0xf8, v3
	v_and_or_b32 v2, v2, 7, v3
	s_and_b64 s[18:19], vcc, s[18:19]
	v_cndmask_b32_e64 v2, v2, 0, s[18:19]
	v_accvgpr_read_b32 v55, a9
	v_or_b32_e32 v2, v2, v4
	v_accvgpr_read_b32 v54, a8
.LBB4_807:                              ;   in Loop: Header=BB4_475 Depth=2
	s_or_b64 exec, exec, s[50:51]
.LBB4_808:                              ;   in Loop: Header=BB4_475 Depth=2
	s_or_b64 exec, exec, s[48:49]
                                        ; implicit-def: $vgpr3
.LBB4_809:                              ;   in Loop: Header=BB4_475 Depth=2
	s_andn2_saveexec_b64 s[18:19], s[46:47]
; %bb.810:                              ;   in Loop: Header=BB4_475 Depth=2
	v_or_b32_sdwa v3, v3, s64 dst_sel:DWORD dst_unused:UNUSED_PAD src0_sel:BYTE_3 src1_sel:DWORD
	v_cmp_eq_u64_e32 vcc, 0, v[22:23]
	v_cndmask_b32_e32 v2, v3, v2, vcc
; %bb.811:                              ;   in Loop: Header=BB4_475 Depth=2
	s_or_b64 exec, exec, s[18:19]
	v_lshlrev_b32_e32 v3, 8, v31
	v_lshlrev_b32_e32 v2, 24, v2
	;; [unrolled: 1-line block ×3, first 2 shown]
	v_perm_b32 v3, v3, v24, s67
	v_cmp_lt_u32_e32 vcc, 7, v21
	v_or3_b32 v3, v2, v3, v4
	v_cndmask_b32_e64 v2, 0, 1, vcc
	;;#ASMSTART
	;;#ASMEND
	v_cmp_ne_u32_e64 s[18:19], 0, v2
	s_cmp_lg_u64 s[18:19], exec
	s_mov_b64 s[18:19], -1
	s_cbranch_scc0 .LBB4_821
; %bb.812:                              ;   in Loop: Header=BB4_475 Depth=2
	v_cmp_ne_u32_e64 s[18:19], 1, v21
	flat_store_byte v[0:1], v8
	s_and_saveexec_b64 s[46:47], s[18:19]
	s_cbranch_execnz .LBB4_823
; %bb.813:                              ;   in Loop: Header=BB4_475 Depth=2
	s_or_b64 exec, exec, s[46:47]
	v_cmp_lt_u32_e64 s[18:19], 2, v21
	s_and_saveexec_b64 s[46:47], s[18:19]
	s_cbranch_execnz .LBB4_824
.LBB4_814:                              ;   in Loop: Header=BB4_475 Depth=2
	s_or_b64 exec, exec, s[46:47]
	v_cmp_lt_u32_e64 s[18:19], 3, v21
	s_and_saveexec_b64 s[46:47], s[18:19]
	s_cbranch_execnz .LBB4_825
.LBB4_815:                              ;   in Loop: Header=BB4_475 Depth=2
	s_or_b64 exec, exec, s[46:47]
	v_cmp_lt_u32_e64 s[18:19], 4, v21
	s_and_saveexec_b64 s[46:47], s[18:19]
	s_cbranch_execnz .LBB4_826
.LBB4_816:                              ;   in Loop: Header=BB4_475 Depth=2
	s_or_b64 exec, exec, s[46:47]
	v_cmp_lt_u32_e64 s[18:19], 5, v21
	s_and_saveexec_b64 s[46:47], s[18:19]
	s_cbranch_execnz .LBB4_827
.LBB4_817:                              ;   in Loop: Header=BB4_475 Depth=2
	s_or_b64 exec, exec, s[46:47]
	v_cmp_lt_u32_e64 s[18:19], 6, v21
	s_and_saveexec_b64 s[46:47], s[18:19]
	s_cbranch_execnz .LBB4_828
.LBB4_818:                              ;   in Loop: Header=BB4_475 Depth=2
	s_or_b64 exec, exec, s[46:47]
	s_and_saveexec_b64 s[18:19], vcc
	s_cbranch_execz .LBB4_820
.LBB4_819:                              ;   in Loop: Header=BB4_475 Depth=2
	v_lshrrev_b32_e32 v2, 24, v3
	flat_store_byte v[0:1], v2 offset:7
.LBB4_820:                              ;   in Loop: Header=BB4_475 Depth=2
	s_or_b64 exec, exec, s[18:19]
	s_mov_b64 s[18:19], 0
.LBB4_821:                              ;   in Loop: Header=BB4_475 Depth=2
	s_and_b64 vcc, exec, s[18:19]
	s_cbranch_vccz .LBB4_474
; %bb.822:                              ;   in Loop: Header=BB4_475 Depth=2
	v_perm_b32 v4, v11, v27, s68
	v_lshlrev_b32_e32 v2, 8, v9
	v_perm_b32 v4, v4, v8, s69
	v_and_or_b32 v2, v2, s70, v4
	global_store_dwordx2 v[0:1], v[2:3], off
	s_branch .LBB4_474
.LBB4_823:                              ;   in Loop: Header=BB4_475 Depth=2
	flat_store_byte v[0:1], v9 offset:1
	s_or_b64 exec, exec, s[46:47]
	v_cmp_lt_u32_e64 s[18:19], 2, v21
	s_and_saveexec_b64 s[46:47], s[18:19]
	s_cbranch_execz .LBB4_814
.LBB4_824:                              ;   in Loop: Header=BB4_475 Depth=2
	flat_store_byte v[0:1], v27 offset:2
	s_or_b64 exec, exec, s[46:47]
	v_cmp_lt_u32_e64 s[18:19], 3, v21
	s_and_saveexec_b64 s[46:47], s[18:19]
	s_cbranch_execz .LBB4_815
.LBB4_825:                              ;   in Loop: Header=BB4_475 Depth=2
	flat_store_byte v[0:1], v11 offset:3
	s_or_b64 exec, exec, s[46:47]
	v_cmp_lt_u32_e64 s[18:19], 4, v21
	s_and_saveexec_b64 s[46:47], s[18:19]
	s_cbranch_execz .LBB4_816
.LBB4_826:                              ;   in Loop: Header=BB4_475 Depth=2
	flat_store_byte v[0:1], v24 offset:4
	s_or_b64 exec, exec, s[46:47]
	v_cmp_lt_u32_e64 s[18:19], 5, v21
	s_and_saveexec_b64 s[46:47], s[18:19]
	s_cbranch_execz .LBB4_817
.LBB4_827:                              ;   in Loop: Header=BB4_475 Depth=2
	flat_store_byte v[0:1], v31 offset:5
	s_or_b64 exec, exec, s[46:47]
	v_cmp_lt_u32_e64 s[18:19], 6, v21
	s_and_saveexec_b64 s[46:47], s[18:19]
	s_cbranch_execz .LBB4_818
.LBB4_828:                              ;   in Loop: Header=BB4_475 Depth=2
	flat_store_byte v[0:1], v32 offset:6
	s_or_b64 exec, exec, s[46:47]
	s_and_saveexec_b64 s[18:19], vcc
	s_cbranch_execnz .LBB4_819
	s_branch .LBB4_820
.LBB4_829:                              ;   in Loop: Header=BB4_21 Depth=1
	s_or_b64 exec, exec, s[44:45]
	v_accvgpr_read_b32 v8, a40
	v_accvgpr_read_b32 v9, a41
.LBB4_830:                              ;   in Loop: Header=BB4_21 Depth=1
	s_or_b64 exec, exec, s[20:21]
	v_accvgpr_read_b32 v27, a3
	v_accvgpr_read_b32 v26, a2
	v_accvgpr_read_b32 v29, a36
	s_and_saveexec_b64 s[18:19], s[10:11]
	s_cbranch_execz .LBB4_849
; %bb.831:                              ;   in Loop: Header=BB4_21 Depth=1
	s_and_saveexec_b64 s[20:21], s[30:31]
	s_xor_b64 s[20:21], exec, s[20:21]
	s_cbranch_execz .LBB4_846
; %bb.832:                              ;   in Loop: Header=BB4_21 Depth=1
	s_and_saveexec_b64 s[44:45], s[12:13]
	s_cbranch_execz .LBB4_845
; %bb.833:                              ;   in Loop: Header=BB4_21 Depth=1
	s_mov_b64 s[48:49], exec
	v_mbcnt_lo_u32_b32 v0, s48, 0
	v_mbcnt_hi_u32_b32 v0, s49, v0
	v_cmp_eq_u32_e32 vcc, 0, v0
	s_waitcnt vmcnt(0) lgkmcnt(0)
	buffer_wbinvl1_vol
	s_and_saveexec_b64 s[46:47], vcc
	s_cbranch_execz .LBB4_835
; %bb.834:                              ;   in Loop: Header=BB4_21 Depth=1
	s_bcnt1_i32_b64 vcc_lo, s[48:49]
	v_mov_b32_e32 v22, vcc_lo
	ds_add_u64 v0, v[22:23]
	s_trap 2
.LBB4_835:                              ;   in Loop: Header=BB4_21 Depth=1
	s_or_b64 exec, exec, s[46:47]
	s_trap 2
	ds_read_b64 v[0:1], v0
	v_accvgpr_read_b32 v2, a26
	v_add_co_u32_e32 v42, vcc, v42, v2
	v_accvgpr_read_b32 v3, a27
	v_addc_co_u32_e32 v43, vcc, v43, v3, vcc
	s_waitcnt lgkmcnt(0)
	v_cmp_lt_u64_e32 vcc, v[0:1], v[42:43]
	s_and_saveexec_b64 s[46:47], vcc
	s_cbranch_execz .LBB4_844
; %bb.836:                              ;   in Loop: Header=BB4_21 Depth=1
	s_mov_b32 s58, 0
	s_mov_b64 s[48:49], 0
                                        ; implicit-def: $sgpr50_sgpr51
                                        ; implicit-def: $sgpr52_sgpr53
	s_branch .LBB4_838
.LBB4_837:                              ;   in Loop: Header=BB4_838 Depth=2
	s_or_b64 exec, exec, s[56:57]
	s_and_b64 vcc, exec, vcc
	s_or_b64 s[48:49], vcc, s[48:49]
	s_andn2_b64 vcc, s[50:51], exec
	s_and_b64 s[50:51], s[52:53], exec
	s_or_b64 s[50:51], vcc, s[50:51]
	s_andn2_b64 exec, exec, s[48:49]
	s_cbranch_execz .LBB4_842
.LBB4_838:                              ;   Parent Loop BB4_21 Depth=1
                                        ; =>  This Inner Loop Header: Depth=2
	s_add_i32 s58, s58, 1
	s_cmpk_lg_i32 s58, 0x2710
	s_cselect_b64 s[54:55], -1, 0
	s_and_b64 vcc, exec, s[54:55]
                                        ; implicit-def: $sgpr56_sgpr57
	s_cbranch_vccnz .LBB4_840
; %bb.839:                              ;   in Loop: Header=BB4_838 Depth=2
	s_trap 2
	ds_read_b64 v[0:1], v0
	s_andn2_b64 s[54:55], s[54:55], exec
	s_mov_b32 s58, 0
	s_mov_b64 s[56:57], -1
	s_waitcnt lgkmcnt(0)
	flat_load_dword v0, v[0:1] glc
	s_waitcnt vmcnt(0) lgkmcnt(0)
	buffer_invl2
	buffer_wbinvl1_vol
	v_cmp_eq_u32_e32 vcc, 0, v0
	s_and_b64 vcc, vcc, exec
	s_or_b64 s[54:55], s[54:55], vcc
.LBB4_840:                              ;   in Loop: Header=BB4_838 Depth=2
	s_andn2_b64 s[52:53], s[52:53], exec
	s_and_b64 s[56:57], s[56:57], exec
	s_mov_b64 vcc, -1
	s_or_b64 s[52:53], s[52:53], s[56:57]
	s_and_saveexec_b64 s[56:57], s[54:55]
	s_cbranch_execz .LBB4_837
; %bb.841:                              ;   in Loop: Header=BB4_838 Depth=2
	s_sleep 1
	s_trap 2
	ds_read_b64 v[0:1], v0
	s_andn2_b64 s[52:53], s[52:53], exec
	s_waitcnt lgkmcnt(0)
	v_cmp_ge_u64_e32 vcc, v[0:1], v[42:43]
	s_orn2_b64 vcc, vcc, exec
	s_branch .LBB4_837
.LBB4_842:                              ;   in Loop: Header=BB4_21 Depth=1
	s_or_b64 exec, exec, s[48:49]
	s_and_saveexec_b64 vcc, s[50:51]
	s_xor_b64 vcc, exec, vcc
	s_cbranch_execz .LBB4_844
; %bb.843:                              ;   in Loop: Header=BB4_21 Depth=1
	v_mov_b32_e32 v0, 1
	ds_write_b32 v0, v0
	s_trap 2
.LBB4_844:                              ;   in Loop: Header=BB4_21 Depth=1
	s_or_b64 exec, exec, s[46:47]
	;;#ASMSTART
	s_wakeup
	;;#ASMEND
.LBB4_845:                              ;   in Loop: Header=BB4_21 Depth=1
	s_or_b64 exec, exec, s[44:45]
.LBB4_846:                              ;   in Loop: Header=BB4_21 Depth=1
	s_andn2_saveexec_b64 s[20:21], s[20:21]
	s_cbranch_execz .LBB4_848
; %bb.847:                              ;   in Loop: Header=BB4_21 Depth=1
	s_waitcnt vmcnt(0) lgkmcnt(0)
	buffer_wbinvl1_vol
	s_barrier
.LBB4_848:                              ;   in Loop: Header=BB4_21 Depth=1
	s_or_b64 exec, exec, s[20:21]
.LBB4_849:                              ;   in Loop: Header=BB4_21 Depth=1
	s_or_b64 exec, exec, s[18:19]
	s_and_saveexec_b64 s[18:19], s[16:17]
	s_cbranch_execz .LBB4_20
; %bb.850:                              ;   in Loop: Header=BB4_21 Depth=1
	v_add_co_u32_e32 v38, vcc, 1, v38
	v_accvgpr_read_b32 v0, a20
	v_addc_co_u32_e32 v39, vcc, 0, v39, vcc
	v_accvgpr_read_b32 v1, a21
	flat_store_dwordx2 v[0:1], v[38:39]
	s_branch .LBB4_20
.LBB4_851:
	s_or_b64 exec, exec, s[28:29]
	v_accvgpr_read_b32 v23, a13
	v_accvgpr_read_b32 v29, a15
	;; [unrolled: 1-line block ×6, first 2 shown]
.LBB4_852:
	s_or_b64 exec, exec, s[26:27]
; %bb.853:
	s_and_saveexec_b64 s[6:7], s[24:25]
	s_cbranch_execnz .LBB4_856
; %bb.854:
	s_or_b64 exec, exec, s[6:7]
	s_and_saveexec_b64 s[6:7], s[4:5]
	s_cbranch_execnz .LBB4_857
.LBB4_855:
	s_or_b64 exec, exec, s[6:7]
	v_cmp_ne_u32_e32 vcc, 64, v20
	s_and_saveexec_b64 s[4:5], vcc
	s_cbranch_execnz .LBB4_858
	s_branch .LBB4_875
.LBB4_856:
	s_waitcnt vmcnt(0) lgkmcnt(0)
	flat_store_dwordx2 v[28:29], v[38:39] offset:104
	s_or_b64 exec, exec, s[6:7]
	s_and_saveexec_b64 s[6:7], s[4:5]
	s_cbranch_execz .LBB4_855
.LBB4_857:
	s_waitcnt vmcnt(0) lgkmcnt(0)
	flat_store_dwordx2 v[22:23], v[14:15] offset:104
	s_or_b64 exec, exec, s[6:7]
	v_cmp_ne_u32_e32 vcc, 64, v20
	s_and_saveexec_b64 s[4:5], vcc
	s_cbranch_execz .LBB4_875
.LBB4_858:
	v_cmp_ne_u32_sdwa s[6:7], v9, v20 src0_sel:WORD_0 src1_sel:DWORD
	s_and_saveexec_b64 s[8:9], s[6:7]
	s_xor_b64 s[6:7], exec, s[8:9]
	s_cbranch_execz .LBB4_873
; %bb.859:
	v_and_b32_e32 v0, 63, v31
	v_cmp_eq_u32_e32 vcc, 0, v0
	s_and_saveexec_b64 s[8:9], vcc
	s_cbranch_execz .LBB4_872
; %bb.860:
	s_mov_b64 s[12:13], exec
	v_mbcnt_lo_u32_b32 v0, s12, 0
	v_mbcnt_hi_u32_b32 v0, s13, v0
	v_cmp_eq_u32_e32 vcc, 0, v0
	s_waitcnt vmcnt(0) lgkmcnt(0)
	buffer_wbinvl1_vol
	s_and_saveexec_b64 s[10:11], vcc
	s_cbranch_execz .LBB4_862
; %bb.861:
	s_bcnt1_i32_b64 s12, s[12:13]
	v_mov_b32_e32 v0, s12
	v_mov_b32_e32 v1, 0
	ds_add_u64 v0, v[0:1]
	s_trap 2
.LBB4_862:
	s_or_b64 exec, exec, s[10:11]
	v_ashrrev_i32_e32 v0, 31, v20
	v_lshrrev_b32_e32 v0, 26, v0
	v_add_u32_e32 v0, v20, v0
	v_ashrrev_i32_e32 v0, 6, v0
	s_trap 2
	ds_read_b64 v[2:3], v0
	v_ashrrev_i32_e32 v1, 31, v0
	v_add_co_u32_e32 v0, vcc, v42, v0
	v_addc_co_u32_e32 v1, vcc, v43, v1, vcc
	s_waitcnt lgkmcnt(0)
	v_cmp_lt_u64_e32 vcc, v[2:3], v[0:1]
	s_and_saveexec_b64 s[10:11], vcc
	s_cbranch_execz .LBB4_871
; %bb.863:
	s_mov_b32 s24, 0
	s_mov_b64 s[12:13], 0
                                        ; implicit-def: $sgpr14_sgpr15
                                        ; implicit-def: $sgpr16_sgpr17
	s_branch .LBB4_865
.LBB4_864:                              ;   in Loop: Header=BB4_865 Depth=1
	s_or_b64 exec, exec, s[22:23]
	s_and_b64 s[18:19], exec, s[20:21]
	s_or_b64 s[12:13], s[18:19], s[12:13]
	s_andn2_b64 s[14:15], s[14:15], exec
	s_and_b64 s[18:19], s[16:17], exec
	s_or_b64 s[14:15], s[14:15], s[18:19]
	s_andn2_b64 exec, exec, s[12:13]
	s_cbranch_execz .LBB4_869
.LBB4_865:                              ; =>This Inner Loop Header: Depth=1
	s_add_i32 s24, s24, 1
	s_cmpk_lg_i32 s24, 0x2710
	s_cselect_b64 s[18:19], -1, 0
	s_and_b64 vcc, exec, s[18:19]
                                        ; implicit-def: $sgpr22_sgpr23
	s_cbranch_vccnz .LBB4_867
; %bb.866:                              ;   in Loop: Header=BB4_865 Depth=1
	s_trap 2
	ds_read_b64 v[2:3], v0
	s_andn2_b64 s[18:19], s[18:19], exec
	s_mov_b32 s24, 0
	s_mov_b64 s[22:23], -1
	s_waitcnt lgkmcnt(0)
	flat_load_dword v2, v[2:3] glc
	s_waitcnt vmcnt(0) lgkmcnt(0)
	buffer_invl2
	buffer_wbinvl1_vol
	v_cmp_eq_u32_e32 vcc, 0, v2
	s_and_b64 s[20:21], vcc, exec
	s_or_b64 s[18:19], s[18:19], s[20:21]
.LBB4_867:                              ;   in Loop: Header=BB4_865 Depth=1
	s_andn2_b64 s[16:17], s[16:17], exec
	s_and_b64 s[22:23], s[22:23], exec
	s_mov_b64 s[20:21], -1
	s_or_b64 s[16:17], s[16:17], s[22:23]
	s_and_saveexec_b64 s[22:23], s[18:19]
	s_cbranch_execz .LBB4_864
; %bb.868:                              ;   in Loop: Header=BB4_865 Depth=1
	s_sleep 1
	s_trap 2
	ds_read_b64 v[2:3], v0
	s_andn2_b64 s[16:17], s[16:17], exec
	s_waitcnt lgkmcnt(0)
	v_cmp_ge_u64_e32 vcc, v[2:3], v[0:1]
	s_orn2_b64 s[20:21], vcc, exec
	s_branch .LBB4_864
.LBB4_869:
	s_or_b64 exec, exec, s[12:13]
	s_and_saveexec_b64 s[12:13], s[14:15]
	s_xor_b64 s[12:13], exec, s[12:13]
	s_cbranch_execz .LBB4_871
; %bb.870:
	v_mov_b32_e32 v0, 1
	ds_write_b32 v0, v0
	s_trap 2
.LBB4_871:
	s_or_b64 exec, exec, s[10:11]
	;;#ASMSTART
	s_wakeup
	;;#ASMEND
.LBB4_872:
	s_or_b64 exec, exec, s[8:9]
.LBB4_873:
	s_andn2_saveexec_b64 s[6:7], s[6:7]
	s_cbranch_execz .LBB4_875
; %bb.874:
	s_waitcnt vmcnt(0) lgkmcnt(0)
	buffer_wbinvl1_vol
	s_barrier
.LBB4_875:
	s_or_b64 exec, exec, s[4:5]
	buffer_load_dword a45, off, s[0:3], s32 ; 4-byte Folded Reload
	buffer_load_dword a44, off, s[0:3], s32 offset:4 ; 4-byte Folded Reload
	buffer_load_dword a43, off, s[0:3], s32 offset:8 ; 4-byte Folded Reload
	;; [unrolled: 1-line block ×28, first 2 shown]
	v_readlane_b32 s30, v63, 39
	v_readlane_b32 s31, v63, 40
	;; [unrolled: 1-line block ×41, first 2 shown]
	s_or_saveexec_b64 s[4:5], -1
	buffer_load_dword v63, off, s[0:3], s32 offset:116 ; 4-byte Folded Reload
	s_mov_b64 exec, s[4:5]
	s_waitcnt vmcnt(0) lgkmcnt(0)
	s_setpc_b64 s[30:31]
.Lfunc_end4:
	.size	_ZN12_GLOBAL__N_17runRingI14__hip_fp8_e4m310FuncMinMaxIS1_E7ProtoLLLi0ELi4ELi0EEEviiP15ncclDevWorkColl, .Lfunc_end4-_ZN12_GLOBAL__N_17runRingI14__hip_fp8_e4m310FuncMinMaxIS1_E7ProtoLLLi0ELi4ELi0EEEviiP15ncclDevWorkColl
                                        ; -- End function
	.section	.AMDGPU.csdata,"",@progbits
; Function info:
; codeLenInByte = 27076
; NumSgprs: 77
; NumVgprs: 64
; NumAgprs: 46
; TotalNumVgprs: 110
; ScratchSize: 124
; MemoryBound: 0
	.text
	.p2align	2                               ; -- Begin function _Z53ncclDevFunc_ReduceScatter_RING_LL_MinMax_f8e4m3_0_0_4v
	.type	_Z53ncclDevFunc_ReduceScatter_RING_LL_MinMax_f8e4m3_0_0_4v,@function
_Z53ncclDevFunc_ReduceScatter_RING_LL_MinMax_f8e4m3_0_0_4v: ; @_Z53ncclDevFunc_ReduceScatter_RING_LL_MinMax_f8e4m3_0_0_4v
; %bb.0:
	s_waitcnt vmcnt(0) expcnt(0) lgkmcnt(0)
	s_mov_b32 s4, s33
	s_mov_b32 s33, s32
	s_or_saveexec_b64 s[6:7], -1
	buffer_store_dword v43, off, s[0:3], s33 offset:16 ; 4-byte Folded Spill
	s_mov_b64 exec, s[6:7]
	v_writelane_b32 v43, s4, 49
	s_addk_i32 s32, 0x800
	buffer_store_dword v40, off, s[0:3], s33 offset:12 ; 4-byte Folded Spill
	buffer_store_dword v41, off, s[0:3], s33 offset:8 ; 4-byte Folded Spill
	;; [unrolled: 1-line block ×3, first 2 shown]
	buffer_store_dword v63, off, s[0:3], s33 ; 4-byte Folded Spill
	v_writelane_b32 v43, s34, 0
	v_writelane_b32 v43, s35, 1
	;; [unrolled: 1-line block ×49, first 2 shown]
	s_trap 2
	ds_read_b32 v0, v0
	v_mov_b32_e32 v40, v31
	v_and_b32_e32 v41, 0x3ff, v40
	s_mov_b32 s73, s12
	s_mov_b64 s[74:75], s[8:9]
	s_waitcnt lgkmcnt(0)
	v_cmp_lt_i32_e32 vcc, v41, v0
	s_and_saveexec_b64 s[4:5], vcc
	s_cbranch_execz .LBB5_5
; %bb.1:
	s_load_dword s6, s[74:75], 0x0
	v_mov_b32_e32 v1, 0
	s_mov_b32 s10, 0
	v_mov_b32_e32 v4, v41
                                        ; implicit-def: $vgpr2
	s_waitcnt lgkmcnt(0)
	s_cmp_lt_u32 s73, s6
	s_cselect_b32 s6, 12, 18
	s_add_u32 s6, s74, s6
	s_addc_u32 s7, s75, 0
	global_load_ushort v1, v1, s[6:7]
	s_trap 2
	ds_read_b32 v3, v0
	s_mov_b64 s[6:7], 0
	s_waitcnt vmcnt(0) lgkmcnt(0)
	v_mul_lo_u32 v3, v3, v1
	s_branch .LBB5_3
.LBB5_2:                                ;   in Loop: Header=BB5_3 Depth=1
	s_or_b64 exec, exec, s[8:9]
	v_add_u32_e32 v4, v4, v1
	v_cmp_ge_i32_e32 vcc, v4, v0
	s_or_b64 s[6:7], vcc, s[6:7]
	v_add_u32_e32 v2, v2, v3
	s_andn2_b64 exec, exec, s[6:7]
	s_cbranch_execz .LBB5_5
.LBB5_3:                                ; =>This Inner Loop Header: Depth=1
	ds_read_b32 v5, v2
	s_waitcnt lgkmcnt(0)
	v_and_b32_e32 v5, 0x1000000, v5
	v_cmp_ne_u32_e32 vcc, 0, v5
	s_and_saveexec_b64 s[8:9], vcc
	s_cbranch_execz .LBB5_2
; %bb.4:                                ;   in Loop: Header=BB5_3 Depth=1
	ds_read_b64 v[6:7], v2 offset:104
	s_waitcnt lgkmcnt(0)
	flat_load_ubyte v5, v[6:7]
	v_mov_b32_e32 v7, s10
	s_waitcnt vmcnt(0) lgkmcnt(0)
	v_and_b32_e32 v6, 0xffff, v5
	ds_write_b64 v2, v[6:7] offset:104
	s_branch .LBB5_2
.LBB5_5:
	s_or_b64 exec, exec, s[4:5]
	s_waitcnt lgkmcnt(0)
	s_barrier
	s_trap 2
	ds_read_b32 v0, v0
	s_waitcnt lgkmcnt(0)
	v_cmp_gt_i32_e32 vcc, 1, v0
	s_cbranch_vccnz .LBB5_13
; %bb.6:
	s_mov_b32 s80, 0
	s_mov_b64 s[76:77], src_shared_base
	v_mov_b32_e32 v42, 6
	s_branch .LBB5_8
.LBB5_7:                                ;   in Loop: Header=BB5_8 Depth=1
	s_or_b64 exec, exec, s[78:79]
	s_trap 2
	ds_read_b32 v0, v0
	s_add_i32 s80, s80, 1
	s_waitcnt lgkmcnt(0)
	v_cmp_lt_i32_e32 vcc, s80, v0
	s_cbranch_vccz .LBB5_13
.LBB5_8:                                ; =>This Inner Loop Header: Depth=1
	s_trap 2
	ds_read_b32 v0, v0
	s_cmp_eq_u32 s80, 0
	s_cbranch_scc1 .LBB5_11
; %bb.9:                                ;   in Loop: Header=BB5_8 Depth=1
	s_trap 2
	s_waitcnt lgkmcnt(0)
	ds_read_b32 v1, v0
	s_waitcnt lgkmcnt(0)
	v_xor_b32_e32 v1, v1, v0
	v_and_b32_e32 v1, 0xff0000, v1
	v_cmp_eq_u32_e32 vcc, 0, v1
	s_cbranch_vccnz .LBB5_11
; %bb.10:                               ;   in Loop: Header=BB5_8 Depth=1
	s_barrier
	ds_read_b32 v0, v0
.LBB5_11:                               ;   in Loop: Header=BB5_8 Depth=1
	s_waitcnt lgkmcnt(0)
	v_lshlrev_b32_sdwa v1, v42, v0 dst_sel:DWORD dst_unused:UNUSED_PAD src0_sel:DWORD src1_sel:BYTE_2
	v_cmp_lt_u32_e32 vcc, v41, v1
	s_and_saveexec_b64 s[78:79], vcc
	s_cbranch_execz .LBB5_7
; %bb.12:                               ;   in Loop: Header=BB5_8 Depth=1
	s_mov_b64 s[8:9], s[74:75]
	s_mov_b32 s12, s73
	v_mov_b32_e32 v31, v40
	v_mov_b32_e32 v0, v41
	;; [unrolled: 1-line block ×3, first 2 shown]
	s_getpc_b64 s[4:5]
	s_add_u32 s4, s4, _ZN12_GLOBAL__N_17runRingI14__hip_fp8_e4m310FuncMinMaxIS1_E7ProtoLLLi0ELi4ELi0EEEviiP15ncclDevWorkColl@rel32@lo+4
	s_addc_u32 s5, s5, _ZN12_GLOBAL__N_17runRingI14__hip_fp8_e4m310FuncMinMaxIS1_E7ProtoLLLi0ELi4ELi0EEEviiP15ncclDevWorkColl@rel32@hi+12
	s_swappc_b64 s[30:31], s[4:5]
	s_branch .LBB5_7
.LBB5_13:
	buffer_load_dword v63, off, s[0:3], s33 ; 4-byte Folded Reload
	buffer_load_dword v42, off, s[0:3], s33 offset:4 ; 4-byte Folded Reload
	buffer_load_dword v41, off, s[0:3], s33 offset:8 ; 4-byte Folded Reload
	;; [unrolled: 1-line block ×3, first 2 shown]
	v_readlane_b32 s30, v43, 47
	v_readlane_b32 s31, v43, 48
	;; [unrolled: 1-line block ×50, first 2 shown]
	s_or_saveexec_b64 s[6:7], -1
	buffer_load_dword v43, off, s[0:3], s33 offset:16 ; 4-byte Folded Reload
	s_mov_b64 exec, s[6:7]
	s_addk_i32 s32, 0xf800
	s_mov_b32 s33, s4
	s_waitcnt vmcnt(0)
	s_setpc_b64 s[30:31]
.Lfunc_end5:
	.size	_Z53ncclDevFunc_ReduceScatter_RING_LL_MinMax_f8e4m3_0_0_4v, .Lfunc_end5-_Z53ncclDevFunc_ReduceScatter_RING_LL_MinMax_f8e4m3_0_0_4v
                                        ; -- End function
	.section	.AMDGPU.csdata,"",@progbits
; Function info:
; codeLenInByte = 1392
; NumSgprs: 85
; NumVgprs: 64
; NumAgprs: 46
; TotalNumVgprs: 110
; ScratchSize: 156
; MemoryBound: 0
	.text
	.p2alignl 6, 3212836864
	.fill 256, 4, 3212836864
	.type	__hip_cuid_6a7d9687e1009fc8,@object ; @__hip_cuid_6a7d9687e1009fc8
	.section	.bss,"aw",@nobits
	.globl	__hip_cuid_6a7d9687e1009fc8
__hip_cuid_6a7d9687e1009fc8:
	.byte	0                               ; 0x0
	.size	__hip_cuid_6a7d9687e1009fc8, 1

	.ident	"AMD clang version 19.0.0git (https://github.com/RadeonOpenCompute/llvm-project roc-6.4.0 25133 c7fe45cf4b819c5991fe208aaa96edf142730f1d)"
	.section	".note.GNU-stack","",@progbits
	.addrsig
	.addrsig_sym _Z53ncclDevFunc_ReduceScatter_RING_LL_MinMax_f8e4m3_0_0_1v
	.addrsig_sym _Z53ncclDevFunc_ReduceScatter_RING_LL_MinMax_f8e4m3_0_0_2v
	.addrsig_sym _Z53ncclDevFunc_ReduceScatter_RING_LL_MinMax_f8e4m3_0_0_4v
	.addrsig_sym ncclShmem
	.addrsig_sym __hip_cuid_6a7d9687e1009fc8
	.amdgpu_metadata
---
amdhsa.kernels:  []
amdhsa.target:   amdgcn-amd-amdhsa--gfx90a
amdhsa.version:
  - 1
  - 2
...

	.end_amdgpu_metadata
